;; amdgpu-corpus repo=ROCm/rocFFT kind=compiled arch=gfx906 opt=O3
	.text
	.amdgcn_target "amdgcn-amd-amdhsa--gfx906"
	.amdhsa_code_object_version 6
	.protected	bluestein_single_fwd_len1352_dim1_dp_op_CI_CI ; -- Begin function bluestein_single_fwd_len1352_dim1_dp_op_CI_CI
	.globl	bluestein_single_fwd_len1352_dim1_dp_op_CI_CI
	.p2align	8
	.type	bluestein_single_fwd_len1352_dim1_dp_op_CI_CI,@function
bluestein_single_fwd_len1352_dim1_dp_op_CI_CI: ; @bluestein_single_fwd_len1352_dim1_dp_op_CI_CI
; %bb.0:
	s_load_dwordx4 s[12:15], s[4:5], 0x28
	s_mov_b64 s[54:55], s[2:3]
	v_mul_u32_u24_e32 v1, 0x4ed, v0
	s_mov_b64 s[52:53], s[0:1]
	v_add_u32_sdwa v3, s6, v1 dst_sel:DWORD dst_unused:UNUSED_PAD src0_sel:DWORD src1_sel:WORD_1
	v_mov_b32_e32 v4, 0
	s_add_u32 s52, s52, s7
	s_waitcnt lgkmcnt(0)
	v_cmp_gt_u64_e32 vcc, s[12:13], v[3:4]
	s_addc_u32 s53, s53, 0
	s_and_saveexec_b64 s[0:1], vcc
	s_cbranch_execz .LBB0_12
; %bb.1:
	s_load_dwordx4 s[8:11], s[4:5], 0x0
	s_load_dwordx4 s[16:19], s[4:5], 0x18
	s_load_dwordx2 s[12:13], s[4:5], 0x38
	v_mov_b32_e32 v2, 52
	v_mul_lo_u16_sdwa v1, v1, v2 dst_sel:DWORD dst_unused:UNUSED_PAD src0_sel:WORD_1 src1_sel:DWORD
	v_mov_b32_e32 v2, v3
	s_waitcnt lgkmcnt(0)
	s_load_dwordx4 s[4:7], s[18:19], 0x0
	s_load_dwordx4 s[0:3], s[16:17], 0x0
	v_sub_u16_e32 v247, v0, v1
	v_lshlrev_b32_e32 v228, 4, v247
	v_mov_b32_e32 v5, s9
	v_lshlrev_b16_e32 v104, 1, v247
	s_waitcnt lgkmcnt(0)
	v_mad_u64_u32 v[0:1], s[16:17], s2, v3, 0
	buffer_store_dword v2, off, s[52:55], 0 offset:372 ; 4-byte Folded Spill
	s_nop 0
	buffer_store_dword v3, off, s[52:55], 0 offset:376 ; 4-byte Folded Spill
                                        ; kill: def $vgpr4 killed $sgpr0 killed $exec
	global_load_dwordx4 v[12:15], v228, s[8:9]
	s_movk_i32 s16, 0x3000
	v_lshlrev_b32_e32 v104, 4, v104
	v_and_b32_e32 v195, 1, v247
	v_add_u32_e32 v192, 0x138, v247
	v_lshlrev_b32_e32 v193, 5, v247
	s_mov_b32 s46, 0x4267c47c
	s_mov_b32 s34, 0x42a4c3d2
	;; [unrolled: 1-line block ×30, first 2 shown]
	s_movk_i32 s33, 0xc0
	v_mad_u64_u32 v[1:2], s[2:3], s3, v3, v[1:2]
	v_mad_u64_u32 v[2:3], s[2:3], s0, v247, 0
	v_lshlrev_b64 v[0:1], 4, v[0:1]
	v_mad_u64_u32 v[3:4], s[2:3], s1, v247, v[3:4]
	v_add_co_u32_e32 v16, vcc, s14, v0
	v_mov_b32_e32 v0, s15
	v_addc_co_u32_e32 v17, vcc, v0, v1, vcc
	v_lshlrev_b64 v[0:1], 4, v[2:3]
	s_mul_i32 s2, s1, 0x2a40
	v_add_co_u32_e32 v10, vcc, v16, v0
	v_addc_co_u32_e32 v11, vcc, v17, v1, vcc
	global_load_dwordx4 v[0:3], v[10:11], off
	v_add_co_u32_e32 v4, vcc, s8, v228
	s_mul_hi_u32 s3, s0, 0x2a40
	v_addc_co_u32_e32 v5, vcc, 0, v5, vcc
	s_add_i32 s2, s3, s2
	s_mul_i32 s3, s0, 0x2a40
	s_movk_i32 s14, 0x2000
	s_mul_hi_u32 s15, s0, 0xffffd900
	s_sub_i32 s15, s15, s0
	s_waitcnt vmcnt(0)
	v_mul_f64 v[6:7], v[2:3], v[14:15]
	v_fma_f64 v[6:7], v[0:1], v[12:13], v[6:7]
	v_mul_f64 v[0:1], v[0:1], v[14:15]
	buffer_store_dword v12, off, s[52:55], 0 offset:384 ; 4-byte Folded Spill
	s_nop 0
	buffer_store_dword v13, off, s[52:55], 0 offset:388 ; 4-byte Folded Spill
	buffer_store_dword v14, off, s[52:55], 0 offset:392 ; 4-byte Folded Spill
	;; [unrolled: 1-line block ×3, first 2 shown]
	v_fma_f64 v[8:9], v[2:3], v[12:13], -v[0:1]
	v_add_co_u32_e32 v2, vcc, s3, v10
	v_mov_b32_e32 v0, s2
	v_addc_co_u32_e32 v3, vcc, v11, v0, vcc
	v_add_co_u32_e32 v0, vcc, s14, v4
	v_addc_co_u32_e32 v1, vcc, 0, v5, vcc
	ds_write_b128 v228, v[6:9]
	global_load_dwordx4 v[6:9], v[2:3], off
	global_load_dwordx4 v[12:15], v[0:1], off offset:2624
	s_mul_i32 s14, s1, 0xffffd900
	v_add_co_u32_e32 v194, vcc, 52, v247
	s_add_i32 s14, s15, s14
	s_mul_i32 s15, s0, 0xffffd900
	v_add_co_u32_e32 v2, vcc, s15, v2
	s_waitcnt vmcnt(0)
	v_mul_f64 v[10:11], v[8:9], v[14:15]
	v_fma_f64 v[10:11], v[6:7], v[12:13], v[10:11]
	v_mul_f64 v[6:7], v[6:7], v[14:15]
	buffer_store_dword v12, off, s[52:55], 0 ; 4-byte Folded Spill
	s_nop 0
	buffer_store_dword v13, off, s[52:55], 0 offset:4 ; 4-byte Folded Spill
	buffer_store_dword v14, off, s[52:55], 0 offset:8 ; 4-byte Folded Spill
	;; [unrolled: 1-line block ×3, first 2 shown]
	v_fma_f64 v[12:13], v[8:9], v[12:13], -v[6:7]
	v_mov_b32_e32 v6, s14
	v_addc_co_u32_e32 v3, vcc, v3, v6, vcc
	ds_write_b128 v228, v[10:13] offset:10816
	global_load_dwordx4 v[6:9], v[2:3], off
	global_load_dwordx4 v[12:15], v228, s[8:9] offset:832
	v_add_co_u32_e32 v2, vcc, s3, v2
	s_waitcnt vmcnt(0)
	v_mul_f64 v[10:11], v[8:9], v[14:15]
	v_fma_f64 v[10:11], v[6:7], v[12:13], v[10:11]
	v_mul_f64 v[6:7], v[6:7], v[14:15]
	buffer_store_dword v12, off, s[52:55], 0 offset:16 ; 4-byte Folded Spill
	s_nop 0
	buffer_store_dword v13, off, s[52:55], 0 offset:20 ; 4-byte Folded Spill
	buffer_store_dword v14, off, s[52:55], 0 offset:24 ; 4-byte Folded Spill
	;; [unrolled: 1-line block ×3, first 2 shown]
	v_fma_f64 v[12:13], v[8:9], v[12:13], -v[6:7]
	v_mov_b32_e32 v6, s2
	v_addc_co_u32_e32 v3, vcc, v3, v6, vcc
	ds_write_b128 v228, v[10:13] offset:832
	global_load_dwordx4 v[6:9], v[2:3], off
	global_load_dwordx4 v[12:15], v[0:1], off offset:3456
	v_add_co_u32_e32 v2, vcc, s15, v2
	s_waitcnt vmcnt(0)
	v_mul_f64 v[10:11], v[8:9], v[14:15]
	v_fma_f64 v[10:11], v[6:7], v[12:13], v[10:11]
	v_mul_f64 v[6:7], v[6:7], v[14:15]
	buffer_store_dword v12, off, s[52:55], 0 offset:32 ; 4-byte Folded Spill
	s_nop 0
	buffer_store_dword v13, off, s[52:55], 0 offset:36 ; 4-byte Folded Spill
	buffer_store_dword v14, off, s[52:55], 0 offset:40 ; 4-byte Folded Spill
	;; [unrolled: 1-line block ×3, first 2 shown]
	v_fma_f64 v[12:13], v[8:9], v[12:13], -v[6:7]
	v_mov_b32_e32 v6, s14
	v_addc_co_u32_e32 v3, vcc, v3, v6, vcc
	ds_write_b128 v228, v[10:13] offset:11648
	global_load_dwordx4 v[6:9], v[2:3], off
	global_load_dwordx4 v[12:15], v228, s[8:9] offset:1664
	v_add_co_u32_e32 v2, vcc, s3, v2
	s_waitcnt vmcnt(0)
	v_mul_f64 v[10:11], v[8:9], v[14:15]
	v_fma_f64 v[10:11], v[6:7], v[12:13], v[10:11]
	v_mul_f64 v[6:7], v[6:7], v[14:15]
	buffer_store_dword v12, off, s[52:55], 0 offset:48 ; 4-byte Folded Spill
	s_nop 0
	buffer_store_dword v13, off, s[52:55], 0 offset:52 ; 4-byte Folded Spill
	buffer_store_dword v14, off, s[52:55], 0 offset:56 ; 4-byte Folded Spill
	;; [unrolled: 1-line block ×3, first 2 shown]
	v_fma_f64 v[12:13], v[8:9], v[12:13], -v[6:7]
	v_mov_b32_e32 v6, s2
	v_addc_co_u32_e32 v3, vcc, v3, v6, vcc
	v_add_co_u32_e32 v14, vcc, s16, v4
	v_addc_co_u32_e32 v15, vcc, 0, v5, vcc
	global_load_dwordx4 v[6:9], v[2:3], off
	global_load_dwordx4 v[18:21], v[14:15], off offset:192
	ds_write_b128 v228, v[10:13] offset:1664
	v_add_co_u32_e32 v2, vcc, s15, v2
	s_waitcnt vmcnt(0)
	v_mul_f64 v[10:11], v[8:9], v[20:21]
	v_fma_f64 v[10:11], v[6:7], v[18:19], v[10:11]
	v_mul_f64 v[6:7], v[6:7], v[20:21]
	buffer_store_dword v18, off, s[52:55], 0 offset:64 ; 4-byte Folded Spill
	s_nop 0
	buffer_store_dword v19, off, s[52:55], 0 offset:68 ; 4-byte Folded Spill
	buffer_store_dword v20, off, s[52:55], 0 offset:72 ; 4-byte Folded Spill
	;; [unrolled: 1-line block ×3, first 2 shown]
	v_fma_f64 v[12:13], v[8:9], v[18:19], -v[6:7]
	v_mov_b32_e32 v6, s14
	v_addc_co_u32_e32 v3, vcc, v3, v6, vcc
	ds_write_b128 v228, v[10:13] offset:12480
	global_load_dwordx4 v[6:9], v[2:3], off
	global_load_dwordx4 v[18:21], v228, s[8:9] offset:2496
	s_waitcnt vmcnt(0)
	v_mul_f64 v[10:11], v[8:9], v[20:21]
	v_fma_f64 v[10:11], v[6:7], v[18:19], v[10:11]
	v_mul_f64 v[6:7], v[6:7], v[20:21]
	buffer_store_dword v18, off, s[52:55], 0 offset:80 ; 4-byte Folded Spill
	s_nop 0
	buffer_store_dword v19, off, s[52:55], 0 offset:84 ; 4-byte Folded Spill
	buffer_store_dword v20, off, s[52:55], 0 offset:88 ; 4-byte Folded Spill
	;; [unrolled: 1-line block ×3, first 2 shown]
	v_fma_f64 v[12:13], v[8:9], v[18:19], -v[6:7]
                                        ; kill: def $vgpr8 killed $sgpr0 killed $exec
	ds_write_b128 v228, v[10:13] offset:2496
	v_or_b32_e32 v10, 0x340, v247
	v_mad_u64_u32 v[6:7], s[16:17], s0, v10, 0
	buffer_store_dword v10, off, s[52:55], 0 offset:96 ; 4-byte Folded Spill
	v_mad_u64_u32 v[7:8], s[16:17], s1, v10, v[7:8]
	v_lshlrev_b32_e32 v10, 4, v10
	buffer_store_dword v10, off, s[52:55], 0 offset:432 ; 4-byte Folded Spill
	v_lshlrev_b64 v[6:7], 4, v[6:7]
	v_add_co_u32_e32 v6, vcc, v16, v6
	v_addc_co_u32_e32 v7, vcc, v17, v7, vcc
	global_load_dwordx4 v[6:9], v[6:7], off
	s_nop 0
	global_load_dwordx4 v[16:19], v10, s[8:9]
	s_waitcnt vmcnt(0)
	v_mul_f64 v[10:11], v[8:9], v[18:19]
	v_fma_f64 v[10:11], v[6:7], v[16:17], v[10:11]
	v_mul_f64 v[6:7], v[6:7], v[18:19]
	buffer_store_dword v16, off, s[52:55], 0 offset:100 ; 4-byte Folded Spill
	s_nop 0
	buffer_store_dword v17, off, s[52:55], 0 offset:104 ; 4-byte Folded Spill
	buffer_store_dword v18, off, s[52:55], 0 offset:108 ; 4-byte Folded Spill
	;; [unrolled: 1-line block ×3, first 2 shown]
	v_fma_f64 v[12:13], v[8:9], v[16:17], -v[6:7]
	v_mov_b32_e32 v6, 0x340
	v_mad_u64_u32 v[2:3], s[16:17], s0, v6, v[2:3]
	s_mul_i32 s0, s1, 0x340
	s_mov_b32 s16, 0x1ea71119
	v_add_u32_e32 v3, s0, v3
	s_movk_i32 s0, 0x1000
	ds_write_b128 v228, v[10:13] offset:13312
	global_load_dwordx4 v[6:9], v[2:3], off
	global_load_dwordx4 v[16:19], v228, s[8:9] offset:3328
	v_add_co_u32_e32 v2, vcc, s3, v2
	s_mov_b32 s17, 0x3fe22d96
	s_waitcnt vmcnt(0)
	v_mul_f64 v[10:11], v[8:9], v[18:19]
	v_fma_f64 v[10:11], v[6:7], v[16:17], v[10:11]
	v_mul_f64 v[6:7], v[6:7], v[18:19]
	buffer_store_dword v16, off, s[52:55], 0 offset:116 ; 4-byte Folded Spill
	s_nop 0
	buffer_store_dword v17, off, s[52:55], 0 offset:120 ; 4-byte Folded Spill
	buffer_store_dword v18, off, s[52:55], 0 offset:124 ; 4-byte Folded Spill
	;; [unrolled: 1-line block ×3, first 2 shown]
	v_fma_f64 v[12:13], v[8:9], v[16:17], -v[6:7]
	v_mov_b32_e32 v6, s2
	v_addc_co_u32_e32 v3, vcc, v3, v6, vcc
	ds_write_b128 v228, v[10:13] offset:3328
	global_load_dwordx4 v[6:9], v[2:3], off
	global_load_dwordx4 v[16:19], v[14:15], off offset:1856
	v_add_co_u32_e32 v2, vcc, s15, v2
	s_waitcnt vmcnt(0)
	v_mul_f64 v[10:11], v[8:9], v[18:19]
	v_fma_f64 v[10:11], v[6:7], v[16:17], v[10:11]
	v_mul_f64 v[6:7], v[6:7], v[18:19]
	buffer_store_dword v16, off, s[52:55], 0 offset:132 ; 4-byte Folded Spill
	s_nop 0
	buffer_store_dword v17, off, s[52:55], 0 offset:136 ; 4-byte Folded Spill
	buffer_store_dword v18, off, s[52:55], 0 offset:140 ; 4-byte Folded Spill
	;; [unrolled: 1-line block ×3, first 2 shown]
	v_fma_f64 v[12:13], v[8:9], v[16:17], -v[6:7]
	v_mov_b32_e32 v6, s14
	v_addc_co_u32_e32 v3, vcc, v3, v6, vcc
	v_add_co_u32_e32 v16, vcc, s0, v4
	v_addc_co_u32_e32 v17, vcc, 0, v5, vcc
	global_load_dwordx4 v[6:9], v[2:3], off
	global_load_dwordx4 v[18:21], v[16:17], off offset:64
	ds_write_b128 v228, v[10:13] offset:14144
	v_add_co_u32_e32 v2, vcc, s3, v2
	s_movk_i32 s0, 0x4000
	s_waitcnt vmcnt(0)
	v_mul_f64 v[10:11], v[8:9], v[20:21]
	v_fma_f64 v[10:11], v[6:7], v[18:19], v[10:11]
	v_mul_f64 v[6:7], v[6:7], v[20:21]
	buffer_store_dword v18, off, s[52:55], 0 offset:148 ; 4-byte Folded Spill
	s_nop 0
	buffer_store_dword v19, off, s[52:55], 0 offset:152 ; 4-byte Folded Spill
	buffer_store_dword v20, off, s[52:55], 0 offset:156 ; 4-byte Folded Spill
	buffer_store_dword v21, off, s[52:55], 0 offset:160 ; 4-byte Folded Spill
	v_fma_f64 v[12:13], v[8:9], v[18:19], -v[6:7]
	v_mov_b32_e32 v6, s2
	v_addc_co_u32_e32 v3, vcc, v3, v6, vcc
	ds_write_b128 v228, v[10:13] offset:4160
	global_load_dwordx4 v[6:9], v[2:3], off
	global_load_dwordx4 v[18:21], v[14:15], off offset:2688
	v_add_co_u32_e32 v2, vcc, s15, v2
	s_waitcnt vmcnt(0)
	v_mul_f64 v[10:11], v[8:9], v[20:21]
	v_fma_f64 v[10:11], v[6:7], v[18:19], v[10:11]
	v_mul_f64 v[6:7], v[6:7], v[20:21]
	buffer_store_dword v18, off, s[52:55], 0 offset:164 ; 4-byte Folded Spill
	s_nop 0
	buffer_store_dword v19, off, s[52:55], 0 offset:168 ; 4-byte Folded Spill
	buffer_store_dword v20, off, s[52:55], 0 offset:172 ; 4-byte Folded Spill
	buffer_store_dword v21, off, s[52:55], 0 offset:176 ; 4-byte Folded Spill
	v_fma_f64 v[12:13], v[8:9], v[18:19], -v[6:7]
	v_mov_b32_e32 v6, s14
	v_addc_co_u32_e32 v3, vcc, v3, v6, vcc
	ds_write_b128 v228, v[10:13] offset:14976
	global_load_dwordx4 v[6:9], v[2:3], off
	global_load_dwordx4 v[18:21], v[16:17], off offset:896
	v_add_co_u32_e32 v2, vcc, s3, v2
	;; [unrolled: 16-line block ×4, first 2 shown]
	s_waitcnt vmcnt(0)
	v_mul_f64 v[10:11], v[8:9], v[14:15]
	v_fma_f64 v[10:11], v[6:7], v[12:13], v[10:11]
	v_mul_f64 v[6:7], v[6:7], v[14:15]
	buffer_store_dword v12, off, s[52:55], 0 offset:212 ; 4-byte Folded Spill
	s_nop 0
	buffer_store_dword v13, off, s[52:55], 0 offset:216 ; 4-byte Folded Spill
	buffer_store_dword v14, off, s[52:55], 0 offset:220 ; 4-byte Folded Spill
	;; [unrolled: 1-line block ×3, first 2 shown]
	v_fma_f64 v[12:13], v[8:9], v[12:13], -v[6:7]
	v_mov_b32_e32 v6, s2
	v_addc_co_u32_e32 v3, vcc, v3, v6, vcc
	v_add_co_u32_e32 v14, vcc, s0, v4
	v_addc_co_u32_e32 v15, vcc, 0, v5, vcc
	global_load_dwordx4 v[6:9], v[2:3], off
	global_load_dwordx4 v[18:21], v[14:15], off offset:256
	ds_write_b128 v228, v[10:13] offset:5824
	v_add_co_u32_e32 v2, vcc, s15, v2
	s_movk_i32 s0, 0x5000
	s_waitcnt vmcnt(0)
	v_mul_f64 v[10:11], v[8:9], v[20:21]
	v_fma_f64 v[10:11], v[6:7], v[18:19], v[10:11]
	v_mul_f64 v[6:7], v[6:7], v[20:21]
	buffer_store_dword v18, off, s[52:55], 0 offset:228 ; 4-byte Folded Spill
	s_nop 0
	buffer_store_dword v19, off, s[52:55], 0 offset:232 ; 4-byte Folded Spill
	buffer_store_dword v20, off, s[52:55], 0 offset:236 ; 4-byte Folded Spill
	buffer_store_dword v21, off, s[52:55], 0 offset:240 ; 4-byte Folded Spill
	v_fma_f64 v[12:13], v[8:9], v[18:19], -v[6:7]
	v_mov_b32_e32 v6, s14
	v_addc_co_u32_e32 v3, vcc, v3, v6, vcc
	ds_write_b128 v228, v[10:13] offset:16640
	global_load_dwordx4 v[6:9], v[2:3], off
	global_load_dwordx4 v[18:21], v[16:17], off offset:2560
	v_add_co_u32_e32 v2, vcc, s3, v2
	s_waitcnt vmcnt(0)
	v_mul_f64 v[10:11], v[8:9], v[20:21]
	v_fma_f64 v[10:11], v[6:7], v[18:19], v[10:11]
	v_mul_f64 v[6:7], v[6:7], v[20:21]
	buffer_store_dword v18, off, s[52:55], 0 offset:244 ; 4-byte Folded Spill
	s_nop 0
	buffer_store_dword v19, off, s[52:55], 0 offset:248 ; 4-byte Folded Spill
	buffer_store_dword v20, off, s[52:55], 0 offset:252 ; 4-byte Folded Spill
	buffer_store_dword v21, off, s[52:55], 0 offset:256 ; 4-byte Folded Spill
	v_fma_f64 v[12:13], v[8:9], v[18:19], -v[6:7]
	v_mov_b32_e32 v6, s2
	v_addc_co_u32_e32 v3, vcc, v3, v6, vcc
	ds_write_b128 v228, v[10:13] offset:6656
	global_load_dwordx4 v[6:9], v[2:3], off
	global_load_dwordx4 v[18:21], v[14:15], off offset:1088
	v_add_co_u32_e32 v2, vcc, s15, v2
	;; [unrolled: 16-line block ×8, first 2 shown]
	s_waitcnt vmcnt(0)
	v_mul_f64 v[10:11], v[8:9], v[18:19]
	v_fma_f64 v[10:11], v[6:7], v[16:17], v[10:11]
	v_mul_f64 v[6:7], v[6:7], v[18:19]
	buffer_store_dword v16, off, s[52:55], 0 offset:276 ; 4-byte Folded Spill
	s_nop 0
	buffer_store_dword v17, off, s[52:55], 0 offset:280 ; 4-byte Folded Spill
	buffer_store_dword v18, off, s[52:55], 0 offset:284 ; 4-byte Folded Spill
	;; [unrolled: 1-line block ×3, first 2 shown]
	v_fma_f64 v[12:13], v[8:9], v[16:17], -v[6:7]
	v_mov_b32_e32 v6, s14
	v_addc_co_u32_e32 v3, vcc, v3, v6, vcc
	s_mov_b32 s14, 0xb2365da1
	s_mov_b32 s15, 0xbfd6b1d8
	ds_write_b128 v228, v[10:13] offset:19968
	global_load_dwordx4 v[6:9], v[2:3], off
	global_load_dwordx4 v[12:15], v[0:1], off offset:1792
	s_waitcnt vmcnt(0)
	v_mul_f64 v[0:1], v[8:9], v[14:15]
	v_fma_f64 v[10:11], v[6:7], v[12:13], v[0:1]
	v_mul_f64 v[0:1], v[6:7], v[14:15]
	buffer_store_dword v12, off, s[52:55], 0 offset:400 ; 4-byte Folded Spill
	s_nop 0
	buffer_store_dword v13, off, s[52:55], 0 offset:404 ; 4-byte Folded Spill
	buffer_store_dword v14, off, s[52:55], 0 offset:408 ; 4-byte Folded Spill
	;; [unrolled: 1-line block ×3, first 2 shown]
	v_fma_f64 v[12:13], v[8:9], v[12:13], -v[0:1]
	v_add_co_u32_e32 v0, vcc, s3, v2
	v_mov_b32_e32 v1, s2
	v_addc_co_u32_e32 v1, vcc, v3, v1, vcc
	v_add_co_u32_e32 v4, vcc, s0, v4
	v_addc_co_u32_e32 v5, vcc, 0, v5, vcc
	global_load_dwordx4 v[0:3], v[0:1], off
	ds_write_b128 v228, v[10:13] offset:9984
	global_load_dwordx4 v[6:9], v[4:5], off offset:320
	s_mov_b32 s2, 0xebaa3ed8
	s_mov_b32 s3, 0x3fbedb7d
	s_movk_i32 s0, 0xffe6
	v_add_co_u32_e32 v233, vcc, s0, v247
	v_cmp_gt_u16_e32 vcc, 26, v247
	s_waitcnt vmcnt(0)
	v_mul_f64 v[4:5], v[2:3], v[8:9]
	v_fma_f64 v[4:5], v[0:1], v[6:7], v[4:5]
	v_mul_f64 v[0:1], v[0:1], v[8:9]
	buffer_store_dword v6, off, s[52:55], 0 offset:416 ; 4-byte Folded Spill
	s_nop 0
	buffer_store_dword v7, off, s[52:55], 0 offset:420 ; 4-byte Folded Spill
	buffer_store_dword v8, off, s[52:55], 0 offset:424 ; 4-byte Folded Spill
	;; [unrolled: 1-line block ×3, first 2 shown]
	v_fma_f64 v[6:7], v[2:3], v[6:7], -v[0:1]
	ds_write_b128 v228, v[4:7] offset:20800
	s_waitcnt lgkmcnt(0)
	; wave barrier
	s_waitcnt lgkmcnt(0)
	ds_read_b128 v[0:3], v228
	ds_read_b128 v[4:7], v228 offset:10816
	ds_read_b128 v[8:11], v228 offset:832
	;; [unrolled: 1-line block ×25, first 2 shown]
	s_waitcnt lgkmcnt(14)
	v_add_f64 v[4:5], v[0:1], -v[4:5]
	v_add_f64 v[6:7], v[2:3], -v[6:7]
	;; [unrolled: 1-line block ×6, first 2 shown]
	s_waitcnt lgkmcnt(12)
	v_add_f64 v[52:53], v[48:49], -v[52:53]
	v_add_f64 v[54:55], v[50:51], -v[54:55]
	s_waitcnt lgkmcnt(10)
	v_add_f64 v[60:61], v[56:57], -v[60:61]
	v_add_f64 v[62:63], v[58:59], -v[62:63]
	v_add_f64 v[28:29], v[24:25], -v[28:29]
	v_add_f64 v[30:31], v[26:27], -v[30:31]
	s_waitcnt lgkmcnt(8)
	v_add_f64 v[68:69], v[64:65], -v[68:69]
	v_add_f64 v[70:71], v[66:67], -v[70:71]
	;; [unrolled: 5-line block ×3, first 2 shown]
	v_fma_f64 v[0:1], v[0:1], 2.0, -v[4:5]
	v_fma_f64 v[2:3], v[2:3], 2.0, -v[6:7]
	v_add_f64 v[44:45], v[40:41], -v[44:45]
	v_add_f64 v[46:47], v[42:43], -v[46:47]
	v_fma_f64 v[8:9], v[8:9], 2.0, -v[12:13]
	v_fma_f64 v[10:11], v[10:11], 2.0, -v[14:15]
	s_waitcnt lgkmcnt(4)
	v_add_f64 v[84:85], v[80:81], -v[84:85]
	v_add_f64 v[86:87], v[82:83], -v[86:87]
	s_waitcnt lgkmcnt(2)
	v_add_f64 v[92:93], v[88:89], -v[92:93]
	v_add_f64 v[94:95], v[90:91], -v[94:95]
	;; [unrolled: 3-line block ×3, first 2 shown]
	v_fma_f64 v[16:17], v[16:17], 2.0, -v[20:21]
	v_fma_f64 v[18:19], v[18:19], 2.0, -v[22:23]
	;; [unrolled: 1-line block ×16, first 2 shown]
	s_waitcnt lgkmcnt(0)
	; wave barrier
	ds_write_b128 v104, v[0:3]
	buffer_store_dword v104, off, s[52:55], 0 offset:444 ; 4-byte Folded Spill
	ds_write_b128 v104, v[4:7] offset:16
	v_lshlrev_b32_e32 v0, 5, v194
	v_mul_u32_u24_e32 v104, 12, v195
	v_fma_f64 v[80:81], v[80:81], 2.0, -v[84:85]
	v_fma_f64 v[82:83], v[82:83], 2.0, -v[86:87]
	;; [unrolled: 1-line block ×6, first 2 shown]
	ds_write_b128 v0, v[8:11]
	buffer_store_dword v0, off, s[52:55], 0 offset:440 ; 4-byte Folded Spill
	ds_write_b128 v0, v[12:15] offset:16
	ds_write_b128 v193, v[16:19] offset:3328
	;; [unrolled: 1-line block ×9, first 2 shown]
	v_lshlrev_b32_e32 v0, 5, v192
	v_lshlrev_b32_e32 v148, 4, v104
	ds_write_b128 v193, v[48:51] offset:9984
	buffer_store_dword v0, off, s[52:55], 0 offset:436 ; 4-byte Folded Spill
	ds_write_b128 v0, v[52:55] offset:16
	ds_write_b128 v193, v[56:59] offset:11648
	;; [unrolled: 1-line block ×13, first 2 shown]
	s_waitcnt lgkmcnt(0)
	; wave barrier
	s_waitcnt lgkmcnt(0)
	ds_read_b128 v[8:11], v228
	ds_read_b128 v[72:75], v228 offset:1664
	ds_read_b128 v[76:79], v228 offset:3328
	;; [unrolled: 1-line block ×25, first 2 shown]
	global_load_dwordx4 v[108:111], v148, s[10:11] offset:48
	global_load_dwordx4 v[120:123], v148, s[10:11] offset:32
	;; [unrolled: 1-line block ×3, first 2 shown]
	global_load_dwordx4 v[144:147], v148, s[10:11]
	s_waitcnt vmcnt(0) lgkmcnt(14)
	v_mul_f64 v[104:105], v[74:75], v[146:147]
	v_fma_f64 v[196:197], v[72:73], v[144:145], -v[104:105]
	global_load_dwordx4 v[104:107], v148, s[10:11] offset:112
	global_load_dwordx4 v[112:115], v148, s[10:11] offset:96
	;; [unrolled: 1-line block ×4, first 2 shown]
	v_mul_f64 v[72:73], v[72:73], v[146:147]
	global_load_dwordx4 v[124:127], v148, s[10:11] offset:176
	global_load_dwordx4 v[132:135], v148, s[10:11] offset:160
	;; [unrolled: 1-line block ×3, first 2 shown]
	s_nop 0
	global_load_dwordx4 v[148:151], v148, s[10:11] offset:128
	s_waitcnt lgkmcnt(0)
	; wave barrier
	s_waitcnt lgkmcnt(0)
	v_fma_f64 v[198:199], v[74:75], v[144:145], v[72:73]
	v_mul_f64 v[72:73], v[78:79], v[130:131]
	v_fma_f64 v[184:185], v[76:77], v[128:129], -v[72:73]
	v_mul_f64 v[72:73], v[76:77], v[130:131]
	v_fma_f64 v[182:183], v[78:79], v[128:129], v[72:73]
	v_mul_f64 v[72:73], v[82:83], v[122:123]
	v_fma_f64 v[180:181], v[80:81], v[120:121], -v[72:73]
	v_mul_f64 v[72:73], v[80:81], v[122:123]
	;; [unrolled: 4-line block ×3, first 2 shown]
	v_fma_f64 v[168:169], v[86:87], v[108:109], v[72:73]
	s_waitcnt vmcnt(4)
	v_mul_f64 v[72:73], v[90:91], v[142:143]
	v_fma_f64 v[170:171], v[88:89], v[140:141], -v[72:73]
	v_mul_f64 v[72:73], v[88:89], v[142:143]
	v_fma_f64 v[164:165], v[90:91], v[140:141], v[72:73]
	v_mul_f64 v[72:73], v[94:95], v[118:119]
	v_fma_f64 v[160:161], v[92:93], v[116:117], -v[72:73]
	v_mul_f64 v[72:73], v[92:93], v[118:119]
	v_fma_f64 v[156:157], v[94:95], v[116:117], v[72:73]
	;; [unrolled: 4-line block ×4, first 2 shown]
	s_waitcnt vmcnt(0)
	v_mul_f64 v[72:73], v[70:71], v[150:151]
	v_fma_f64 v[186:187], v[68:69], v[148:149], -v[72:73]
	v_mul_f64 v[68:69], v[68:69], v[150:151]
	v_fma_f64 v[178:179], v[70:71], v[148:149], v[68:69]
	v_mul_f64 v[68:69], v[66:67], v[138:139]
	v_fma_f64 v[190:191], v[64:65], v[136:137], -v[68:69]
	v_mul_f64 v[64:65], v[64:65], v[138:139]
	v_fma_f64 v[188:189], v[66:67], v[136:137], v[64:65]
	;; [unrolled: 4-line block ×14, first 2 shown]
	v_mul_f64 v[16:17], v[14:15], v[134:135]
	v_add_f64 v[18:19], v[198:199], -v[56:57]
	v_fma_f64 v[98:99], v[12:13], v[132:133], -v[16:17]
	v_mul_f64 v[12:13], v[12:13], v[134:135]
	v_add_f64 v[16:17], v[196:197], -v[204:205]
	v_mul_f64 v[20:21], v[18:19], s[46:47]
	v_mul_f64 v[28:29], v[18:19], s[34:35]
	;; [unrolled: 1-line block ×6, first 2 shown]
	v_fma_f64 v[96:97], v[14:15], v[132:133], v[12:13]
	v_mul_f64 v[12:13], v[2:3], v[126:127]
	v_add_f64 v[14:15], v[198:199], v[56:57]
	v_mul_f64 v[24:25], v[16:17], s[46:47]
	v_mul_f64 v[32:33], v[16:17], s[34:35]
	;; [unrolled: 1-line block ×4, first 2 shown]
	v_fma_f64 v[154:155], v[0:1], v[124:125], -v[12:13]
	v_mul_f64 v[0:1], v[0:1], v[126:127]
	v_add_f64 v[12:13], v[196:197], v[204:205]
	v_fma_f64 v[26:27], v[14:15], s[20:21], v[24:25]
	v_fma_f64 v[24:25], v[14:15], s[20:21], -v[24:25]
	v_fma_f64 v[34:35], v[14:15], s[16:17], v[32:33]
	v_fma_f64 v[32:33], v[14:15], s[16:17], -v[32:33]
	;; [unrolled: 2-line block ×3, first 2 shown]
	v_fma_f64 v[152:153], v[2:3], v[124:125], v[0:1]
	v_add_f64 v[2:3], v[10:11], v[198:199]
	v_add_f64 v[0:1], v[8:9], v[196:197]
	v_fma_f64 v[22:23], v[12:13], s[20:21], -v[20:21]
	v_fma_f64 v[20:21], v[12:13], s[20:21], v[20:21]
	v_fma_f64 v[30:31], v[12:13], s[16:17], -v[28:29]
	v_fma_f64 v[28:29], v[12:13], s[16:17], v[28:29]
	;; [unrolled: 2-line block ×3, first 2 shown]
	v_add_f64 v[2:3], v[2:3], v[182:183]
	v_add_f64 v[0:1], v[0:1], v[184:185]
	v_fma_f64 v[46:47], v[12:13], s[14:15], -v[44:45]
	v_fma_f64 v[44:45], v[12:13], s[14:15], v[44:45]
	v_fma_f64 v[54:55], v[12:13], s[24:25], -v[52:53]
	v_fma_f64 v[52:53], v[12:13], s[24:25], v[52:53]
	;; [unrolled: 2-line block ×3, first 2 shown]
	v_add_f64 v[2:3], v[2:3], v[176:177]
	v_add_f64 v[0:1], v[0:1], v[180:181]
	;; [unrolled: 1-line block ×11, first 2 shown]
	v_fma_f64 v[50:51], v[14:15], s[14:15], v[48:49]
	v_add_f64 v[44:45], v[8:9], v[44:45]
	v_fma_f64 v[48:49], v[14:15], s[14:15], -v[48:49]
	v_add_f64 v[54:55], v[8:9], v[54:55]
	v_add_f64 v[52:53], v[8:9], v[52:53]
	;; [unrolled: 1-line block ×6, first 2 shown]
	v_add_f64 v[18:19], v[182:183], -v[202:203]
	v_add_f64 v[26:27], v[10:11], v[26:27]
	v_add_f64 v[24:25], v[10:11], v[24:25]
	;; [unrolled: 1-line block ×21, first 2 shown]
	v_mul_f64 v[56:57], v[16:17], s[26:27]
	v_mul_f64 v[16:17], v[16:17], s[30:31]
	v_add_f64 v[0:1], v[0:1], v[204:205]
	v_fma_f64 v[58:59], v[14:15], s[24:25], v[56:57]
	v_fma_f64 v[56:57], v[14:15], s[24:25], -v[56:57]
	v_fma_f64 v[198:199], v[14:15], s[28:29], v[16:17]
	v_fma_f64 v[12:13], v[14:15], s[28:29], -v[16:17]
	v_add_f64 v[14:15], v[182:183], v[202:203]
	v_mul_f64 v[182:183], v[18:19], s[34:35]
	v_add_f64 v[16:17], v[184:185], -v[200:201]
	v_add_f64 v[58:59], v[10:11], v[58:59]
	v_add_f64 v[56:57], v[10:11], v[56:57]
	;; [unrolled: 1-line block ×5, first 2 shown]
	v_fma_f64 v[184:185], v[12:13], s[16:17], -v[182:183]
	v_fma_f64 v[182:183], v[12:13], s[16:17], v[182:183]
	v_add_f64 v[22:23], v[184:185], v[22:23]
	v_mul_f64 v[184:185], v[16:17], s[34:35]
	v_add_f64 v[20:21], v[182:183], v[20:21]
	v_fma_f64 v[182:183], v[14:15], s[16:17], -v[184:185]
	v_fma_f64 v[200:201], v[14:15], s[16:17], v[184:185]
	v_add_f64 v[24:25], v[182:183], v[24:25]
	v_mul_f64 v[182:183], v[18:19], s[18:19]
	v_add_f64 v[26:27], v[200:201], v[26:27]
	v_fma_f64 v[184:185], v[12:13], s[14:15], -v[182:183]
	v_fma_f64 v[182:183], v[12:13], s[14:15], v[182:183]
	v_add_f64 v[30:31], v[184:185], v[30:31]
	v_mul_f64 v[184:185], v[16:17], s[18:19]
	v_add_f64 v[28:29], v[182:183], v[28:29]
	v_fma_f64 v[182:183], v[14:15], s[14:15], -v[184:185]
	v_fma_f64 v[200:201], v[14:15], s[14:15], v[184:185]
	v_add_f64 v[32:33], v[182:183], v[32:33]
	v_mul_f64 v[182:183], v[18:19], s[30:31]
	v_add_f64 v[34:35], v[200:201], v[34:35]
	v_fma_f64 v[184:185], v[12:13], s[28:29], -v[182:183]
	v_fma_f64 v[182:183], v[12:13], s[28:29], v[182:183]
	v_add_f64 v[38:39], v[184:185], v[38:39]
	v_mul_f64 v[184:185], v[16:17], s[30:31]
	v_add_f64 v[36:37], v[182:183], v[36:37]
	v_fma_f64 v[182:183], v[14:15], s[28:29], -v[184:185]
	v_fma_f64 v[200:201], v[14:15], s[28:29], v[184:185]
	v_add_f64 v[40:41], v[182:183], v[40:41]
	v_mul_f64 v[182:183], v[18:19], s[42:43]
	v_add_f64 v[42:43], v[200:201], v[42:43]
	v_fma_f64 v[184:185], v[12:13], s[24:25], -v[182:183]
	v_fma_f64 v[182:183], v[12:13], s[24:25], v[182:183]
	v_add_f64 v[46:47], v[184:185], v[46:47]
	v_mul_f64 v[184:185], v[16:17], s[42:43]
	v_add_f64 v[44:45], v[182:183], v[44:45]
	v_fma_f64 v[182:183], v[14:15], s[24:25], -v[184:185]
	v_fma_f64 v[200:201], v[14:15], s[24:25], v[184:185]
	v_add_f64 v[48:49], v[182:183], v[48:49]
	v_mul_f64 v[182:183], v[18:19], s[22:23]
	v_mul_f64 v[18:19], v[18:19], s[36:37]
	v_add_f64 v[50:51], v[200:201], v[50:51]
	v_fma_f64 v[184:185], v[12:13], s[2:3], -v[182:183]
	v_fma_f64 v[182:183], v[12:13], s[2:3], v[182:183]
	v_add_f64 v[54:55], v[184:185], v[54:55]
	v_mul_f64 v[184:185], v[16:17], s[22:23]
	v_add_f64 v[52:53], v[182:183], v[52:53]
	v_mul_f64 v[16:17], v[16:17], s[36:37]
	v_fma_f64 v[182:183], v[14:15], s[2:3], -v[184:185]
	v_fma_f64 v[200:201], v[14:15], s[2:3], v[184:185]
	v_fma_f64 v[184:185], v[14:15], s[20:21], v[16:17]
	v_add_f64 v[56:57], v[182:183], v[56:57]
	v_fma_f64 v[182:183], v[12:13], s[20:21], -v[18:19]
	v_fma_f64 v[12:13], v[12:13], s[20:21], v[18:19]
	v_add_f64 v[18:19], v[176:177], -v[188:189]
	v_add_f64 v[58:59], v[200:201], v[58:59]
	v_add_f64 v[184:185], v[184:185], v[198:199]
	v_add_f64 v[182:183], v[182:183], v[196:197]
	v_add_f64 v[8:9], v[12:13], v[8:9]
	v_fma_f64 v[12:13], v[14:15], s[20:21], -v[16:17]
	v_add_f64 v[14:15], v[176:177], v[188:189]
	v_mul_f64 v[176:177], v[18:19], s[38:39]
	v_add_f64 v[16:17], v[180:181], -v[190:191]
	v_add_f64 v[10:11], v[12:13], v[10:11]
	v_add_f64 v[12:13], v[180:181], v[190:191]
	v_fma_f64 v[180:181], v[12:13], s[2:3], -v[176:177]
	v_fma_f64 v[176:177], v[12:13], s[2:3], v[176:177]
	v_add_f64 v[22:23], v[180:181], v[22:23]
	v_mul_f64 v[180:181], v[16:17], s[38:39]
	v_add_f64 v[20:21], v[176:177], v[20:21]
	v_fma_f64 v[176:177], v[14:15], s[2:3], -v[180:181]
	v_fma_f64 v[188:189], v[14:15], s[2:3], v[180:181]
	v_add_f64 v[24:25], v[176:177], v[24:25]
	v_mul_f64 v[176:177], v[18:19], s[30:31]
	v_add_f64 v[26:27], v[188:189], v[26:27]
	v_fma_f64 v[180:181], v[12:13], s[28:29], -v[176:177]
	v_fma_f64 v[176:177], v[12:13], s[28:29], v[176:177]
	v_add_f64 v[30:31], v[180:181], v[30:31]
	v_mul_f64 v[180:181], v[16:17], s[30:31]
	v_add_f64 v[28:29], v[176:177], v[28:29]
	v_fma_f64 v[176:177], v[14:15], s[28:29], -v[180:181]
	v_fma_f64 v[188:189], v[14:15], s[28:29], v[180:181]
	v_add_f64 v[32:33], v[176:177], v[32:33]
	v_mul_f64 v[176:177], v[18:19], s[48:49]
	v_add_f64 v[34:35], v[188:189], v[34:35]
	v_fma_f64 v[180:181], v[12:13], s[14:15], -v[176:177]
	v_fma_f64 v[176:177], v[12:13], s[14:15], v[176:177]
	v_add_f64 v[38:39], v[180:181], v[38:39]
	v_mul_f64 v[180:181], v[16:17], s[48:49]
	v_add_f64 v[36:37], v[176:177], v[36:37]
	v_fma_f64 v[176:177], v[14:15], s[14:15], -v[180:181]
	v_fma_f64 v[188:189], v[14:15], s[14:15], v[180:181]
	v_add_f64 v[40:41], v[176:177], v[40:41]
	v_mul_f64 v[176:177], v[18:19], s[36:37]
	v_add_f64 v[42:43], v[188:189], v[42:43]
	v_fma_f64 v[180:181], v[12:13], s[20:21], -v[176:177]
	v_fma_f64 v[176:177], v[12:13], s[20:21], v[176:177]
	v_add_f64 v[46:47], v[180:181], v[46:47]
	v_mul_f64 v[180:181], v[16:17], s[36:37]
	v_add_f64 v[44:45], v[176:177], v[44:45]
	v_fma_f64 v[176:177], v[14:15], s[20:21], -v[180:181]
	v_fma_f64 v[188:189], v[14:15], s[20:21], v[180:181]
	v_add_f64 v[48:49], v[176:177], v[48:49]
	v_mul_f64 v[176:177], v[18:19], s[34:35]
	v_mul_f64 v[18:19], v[18:19], s[26:27]
	v_add_f64 v[50:51], v[188:189], v[50:51]
	v_fma_f64 v[180:181], v[12:13], s[16:17], -v[176:177]
	v_fma_f64 v[176:177], v[12:13], s[16:17], v[176:177]
	v_add_f64 v[54:55], v[180:181], v[54:55]
	v_mul_f64 v[180:181], v[16:17], s[34:35]
	v_add_f64 v[52:53], v[176:177], v[52:53]
	v_mul_f64 v[16:17], v[16:17], s[26:27]
	v_fma_f64 v[176:177], v[14:15], s[16:17], -v[180:181]
	v_fma_f64 v[188:189], v[14:15], s[16:17], v[180:181]
	v_fma_f64 v[180:181], v[14:15], s[24:25], v[16:17]
	v_add_f64 v[56:57], v[176:177], v[56:57]
	v_fma_f64 v[176:177], v[12:13], s[24:25], -v[18:19]
	v_fma_f64 v[12:13], v[12:13], s[24:25], v[18:19]
	v_add_f64 v[18:19], v[168:169], -v[178:179]
	v_add_f64 v[58:59], v[188:189], v[58:59]
	v_add_f64 v[180:181], v[180:181], v[184:185]
	v_add_f64 v[176:177], v[176:177], v[182:183]
	v_add_f64 v[8:9], v[12:13], v[8:9]
	v_fma_f64 v[12:13], v[14:15], s[24:25], -v[16:17]
	v_add_f64 v[14:15], v[168:169], v[178:179]
	v_mul_f64 v[168:169], v[18:19], s[18:19]
	v_add_f64 v[16:17], v[174:175], -v[186:187]
	v_add_f64 v[10:11], v[12:13], v[10:11]
	v_add_f64 v[12:13], v[174:175], v[186:187]
	v_fma_f64 v[174:175], v[12:13], s[14:15], -v[168:169]
	v_fma_f64 v[168:169], v[12:13], s[14:15], v[168:169]
	v_add_f64 v[22:23], v[174:175], v[22:23]
	v_mul_f64 v[174:175], v[16:17], s[18:19]
	v_add_f64 v[20:21], v[168:169], v[20:21]
	v_fma_f64 v[168:169], v[14:15], s[14:15], -v[174:175]
	v_fma_f64 v[178:179], v[14:15], s[14:15], v[174:175]
	v_add_f64 v[24:25], v[168:169], v[24:25]
	v_mul_f64 v[168:169], v[18:19], s[42:43]
	v_add_f64 v[26:27], v[178:179], v[26:27]
	v_fma_f64 v[174:175], v[12:13], s[24:25], -v[168:169]
	v_fma_f64 v[168:169], v[12:13], s[24:25], v[168:169]
	v_add_f64 v[30:31], v[174:175], v[30:31]
	v_mul_f64 v[174:175], v[16:17], s[42:43]
	v_add_f64 v[28:29], v[168:169], v[28:29]
	v_fma_f64 v[168:169], v[14:15], s[24:25], -v[174:175]
	v_fma_f64 v[178:179], v[14:15], s[24:25], v[174:175]
	v_add_f64 v[32:33], v[168:169], v[32:33]
	v_mul_f64 v[168:169], v[18:19], s[36:37]
	v_add_f64 v[34:35], v[178:179], v[34:35]
	v_fma_f64 v[174:175], v[12:13], s[20:21], -v[168:169]
	v_fma_f64 v[168:169], v[12:13], s[20:21], v[168:169]
	v_add_f64 v[38:39], v[174:175], v[38:39]
	v_mul_f64 v[174:175], v[16:17], s[36:37]
	v_add_f64 v[36:37], v[168:169], v[36:37]
	v_fma_f64 v[168:169], v[14:15], s[20:21], -v[174:175]
	v_fma_f64 v[178:179], v[14:15], s[20:21], v[174:175]
	v_add_f64 v[40:41], v[168:169], v[40:41]
	v_mul_f64 v[168:169], v[18:19], s[38:39]
	v_add_f64 v[42:43], v[178:179], v[42:43]
	v_fma_f64 v[174:175], v[12:13], s[2:3], -v[168:169]
	v_fma_f64 v[168:169], v[12:13], s[2:3], v[168:169]
	v_add_f64 v[46:47], v[174:175], v[46:47]
	v_mul_f64 v[174:175], v[16:17], s[38:39]
	v_add_f64 v[44:45], v[168:169], v[44:45]
	v_fma_f64 v[168:169], v[14:15], s[2:3], -v[174:175]
	v_fma_f64 v[178:179], v[14:15], s[2:3], v[174:175]
	v_add_f64 v[48:49], v[168:169], v[48:49]
	v_mul_f64 v[168:169], v[18:19], s[44:45]
	v_mul_f64 v[18:19], v[18:19], s[40:41]
	v_add_f64 v[50:51], v[178:179], v[50:51]
	v_fma_f64 v[174:175], v[12:13], s[28:29], -v[168:169]
	v_fma_f64 v[168:169], v[12:13], s[28:29], v[168:169]
	v_add_f64 v[54:55], v[174:175], v[54:55]
	v_mul_f64 v[174:175], v[16:17], s[44:45]
	v_add_f64 v[52:53], v[168:169], v[52:53]
	v_mul_f64 v[16:17], v[16:17], s[40:41]
	v_fma_f64 v[168:169], v[14:15], s[28:29], -v[174:175]
	v_fma_f64 v[178:179], v[14:15], s[28:29], v[174:175]
	v_fma_f64 v[174:175], v[14:15], s[16:17], v[16:17]
	v_add_f64 v[56:57], v[168:169], v[56:57]
	v_fma_f64 v[168:169], v[12:13], s[16:17], -v[18:19]
	v_fma_f64 v[12:13], v[12:13], s[16:17], v[18:19]
	v_add_f64 v[18:19], v[164:165], -v[166:167]
	v_add_f64 v[58:59], v[178:179], v[58:59]
	v_add_f64 v[174:175], v[174:175], v[180:181]
	v_add_f64 v[168:169], v[168:169], v[176:177]
	v_add_f64 v[8:9], v[12:13], v[8:9]
	v_fma_f64 v[12:13], v[14:15], s[16:17], -v[16:17]
	v_add_f64 v[14:15], v[164:165], v[166:167]
	v_mul_f64 v[164:165], v[18:19], s[26:27]
	v_add_f64 v[16:17], v[170:171], -v[172:173]
	v_add_f64 v[10:11], v[12:13], v[10:11]
	v_add_f64 v[12:13], v[170:171], v[172:173]
	v_fma_f64 v[166:167], v[12:13], s[24:25], -v[164:165]
	v_fma_f64 v[164:165], v[12:13], s[24:25], v[164:165]
	v_add_f64 v[22:23], v[166:167], v[22:23]
	v_mul_f64 v[166:167], v[16:17], s[26:27]
	v_add_f64 v[20:21], v[164:165], v[20:21]
	v_fma_f64 v[164:165], v[14:15], s[24:25], -v[166:167]
	v_fma_f64 v[170:171], v[14:15], s[24:25], v[166:167]
	v_add_f64 v[24:25], v[164:165], v[24:25]
	v_mul_f64 v[164:165], v[18:19], s[22:23]
	v_add_f64 v[26:27], v[170:171], v[26:27]
	;; [unrolled: 5-line block ×4, first 2 shown]
	v_fma_f64 v[166:167], v[12:13], s[16:17], -v[164:165]
	v_add_f64 v[166:167], v[166:167], v[38:39]
	v_mul_f64 v[38:39], v[16:17], s[34:35]
	v_fma_f64 v[170:171], v[14:15], s[16:17], v[38:39]
	v_add_f64 v[170:171], v[170:171], v[42:43]
	v_fma_f64 v[42:43], v[12:13], s[16:17], v[164:165]
	v_add_f64 v[164:165], v[42:43], v[36:37]
	v_fma_f64 v[36:37], v[14:15], s[16:17], -v[38:39]
	v_add_f64 v[172:173], v[36:37], v[40:41]
	v_mul_f64 v[36:37], v[18:19], s[44:45]
	v_fma_f64 v[38:39], v[12:13], s[28:29], -v[36:37]
	v_fma_f64 v[36:37], v[12:13], s[28:29], v[36:37]
	v_add_f64 v[176:177], v[38:39], v[46:47]
	v_mul_f64 v[38:39], v[16:17], s[44:45]
	v_add_f64 v[36:37], v[36:37], v[44:45]
	v_mul_f64 v[44:45], v[18:19], s[36:37]
	v_mul_f64 v[46:47], v[16:17], s[36:37]
	;; [unrolled: 1-line block ×4, first 2 shown]
	v_fma_f64 v[40:41], v[14:15], s[28:29], v[38:39]
	v_fma_f64 v[38:39], v[14:15], s[28:29], -v[38:39]
	v_fma_f64 v[42:43], v[14:15], s[20:21], v[46:47]
	v_fma_f64 v[46:47], v[14:15], s[20:21], -v[46:47]
	v_add_f64 v[178:179], v[40:41], v[50:51]
	v_add_f64 v[38:39], v[38:39], v[48:49]
	v_fma_f64 v[40:41], v[12:13], s[20:21], -v[44:45]
	v_fma_f64 v[44:45], v[12:13], s[20:21], v[44:45]
	v_fma_f64 v[48:49], v[12:13], s[14:15], -v[18:19]
	v_fma_f64 v[12:13], v[12:13], s[14:15], v[18:19]
	v_add_f64 v[46:47], v[46:47], v[56:57]
	v_add_f64 v[56:57], v[156:157], v[158:159]
	v_add_f64 v[156:157], v[156:157], -v[158:159]
	v_add_f64 v[42:43], v[42:43], v[58:59]
	v_add_f64 v[40:41], v[40:41], v[54:55]
	;; [unrolled: 1-line block ×3, first 2 shown]
	v_fma_f64 v[50:51], v[14:15], s[14:15], v[16:17]
	v_add_f64 v[52:53], v[12:13], v[8:9]
	v_fma_f64 v[8:9], v[14:15], s[14:15], -v[16:17]
	v_add_f64 v[58:59], v[160:161], v[162:163]
	v_mul_f64 v[16:17], v[156:157], s[36:37]
	v_add_f64 v[160:161], v[160:161], -v[162:163]
	v_mul_f64 v[158:159], v[156:157], s[40:41]
	v_add_f64 v[48:49], v[48:49], v[168:169]
	v_add_f64 v[50:51], v[50:51], v[174:175]
	;; [unrolled: 1-line block ×3, first 2 shown]
	v_mul_f64 v[8:9], v[156:157], s[30:31]
	v_fma_f64 v[18:19], v[58:59], s[20:21], -v[16:17]
	v_mul_f64 v[162:163], v[160:161], s[40:41]
	v_fma_f64 v[16:17], v[58:59], s[20:21], v[16:17]
	v_fma_f64 v[10:11], v[58:59], s[28:29], -v[8:9]
	v_fma_f64 v[8:9], v[58:59], s[28:29], v[8:9]
	v_add_f64 v[16:17], v[16:17], v[28:29]
	v_mul_f64 v[28:29], v[156:157], s[26:27]
	v_add_f64 v[12:13], v[10:11], v[22:23]
	v_add_f64 v[8:9], v[8:9], v[20:21]
	;; [unrolled: 1-line block ×3, first 2 shown]
	v_mul_f64 v[18:19], v[160:161], s[36:37]
	v_mul_f64 v[10:11], v[160:161], s[30:31]
	v_mul_f64 v[30:31], v[160:161], s[26:27]
	v_fma_f64 v[22:23], v[56:57], s[20:21], v[18:19]
	v_fma_f64 v[18:19], v[56:57], s[20:21], -v[18:19]
	v_fma_f64 v[14:15], v[56:57], s[28:29], v[10:11]
	v_fma_f64 v[10:11], v[56:57], s[28:29], -v[10:11]
	v_add_f64 v[22:23], v[22:23], v[34:35]
	v_add_f64 v[18:19], v[18:19], v[32:33]
	v_fma_f64 v[32:33], v[58:59], s[16:17], -v[158:159]
	v_fma_f64 v[158:159], v[58:59], s[16:17], v[158:159]
	v_fma_f64 v[34:35], v[56:57], s[16:17], v[162:163]
	v_add_f64 v[10:11], v[10:11], v[24:25]
	v_fma_f64 v[24:25], v[58:59], s[24:25], -v[28:29]
	v_fma_f64 v[28:29], v[58:59], s[24:25], v[28:29]
	v_add_f64 v[14:15], v[14:15], v[26:27]
	v_fma_f64 v[26:27], v[56:57], s[24:25], v[30:31]
	v_fma_f64 v[30:31], v[56:57], s[24:25], -v[30:31]
	v_add_f64 v[36:37], v[158:159], v[36:37]
	v_fma_f64 v[158:159], v[56:57], s[16:17], -v[162:163]
	v_add_f64 v[32:33], v[32:33], v[176:177]
	v_add_f64 v[24:25], v[24:25], v[166:167]
	;; [unrolled: 1-line block ×7, first 2 shown]
	v_mul_f64 v[158:159], v[156:157], s[18:19]
	v_mul_f64 v[156:157], v[156:157], s[22:23]
	v_fma_f64 v[162:163], v[58:59], s[14:15], -v[158:159]
	v_fma_f64 v[158:159], v[58:59], s[14:15], v[158:159]
	v_add_f64 v[40:41], v[162:163], v[40:41]
	v_mul_f64 v[162:163], v[160:161], s[18:19]
	v_add_f64 v[44:45], v[158:159], v[44:45]
	v_fma_f64 v[158:159], v[56:57], s[14:15], -v[162:163]
	v_fma_f64 v[164:165], v[56:57], s[14:15], v[162:163]
	v_add_f64 v[46:47], v[158:159], v[46:47]
	v_fma_f64 v[158:159], v[58:59], s[2:3], -v[156:157]
	v_fma_f64 v[58:59], v[58:59], s[2:3], v[156:157]
	v_add_f64 v[42:43], v[164:165], v[42:43]
	v_add_f64 v[156:157], v[102:103], v[154:155]
	;; [unrolled: 1-line block ×3, first 2 shown]
	v_mul_f64 v[158:159], v[160:161], s[22:23]
	v_add_f64 v[52:53], v[58:59], v[52:53]
	v_add_f64 v[58:59], v[6:7], v[100:101]
	v_fma_f64 v[160:161], v[56:57], s[2:3], v[158:159]
	v_fma_f64 v[56:57], v[56:57], s[2:3], -v[158:159]
	v_add_f64 v[58:59], v[58:59], v[92:93]
	v_add_f64 v[158:159], v[100:101], v[152:153]
	v_add_f64 v[100:101], v[100:101], -v[152:153]
	v_add_f64 v[50:51], v[160:161], v[50:51]
	v_add_f64 v[54:55], v[56:57], v[54:55]
	;; [unrolled: 1-line block ×4, first 2 shown]
	v_add_f64 v[102:103], v[102:103], -v[154:155]
	v_mul_f64 v[164:165], v[100:101], s[34:35]
	v_mul_f64 v[172:173], v[100:101], s[38:39]
	v_mul_f64 v[180:181], v[100:101], s[18:19]
	v_mul_f64 v[188:189], v[100:101], s[26:27]
	v_add_f64 v[56:57], v[56:57], v[94:95]
	v_add_f64 v[58:59], v[58:59], v[76:77]
	v_mul_f64 v[160:161], v[102:103], s[46:47]
	v_fma_f64 v[166:167], v[156:157], s[16:17], -v[164:165]
	v_mul_f64 v[168:169], v[102:103], s[34:35]
	v_fma_f64 v[164:165], v[156:157], s[16:17], v[164:165]
	v_fma_f64 v[174:175], v[156:157], s[2:3], -v[172:173]
	v_mul_f64 v[176:177], v[102:103], s[38:39]
	v_add_f64 v[56:57], v[56:57], v[88:89]
	v_add_f64 v[58:59], v[58:59], v[68:69]
	v_fma_f64 v[172:173], v[156:157], s[2:3], v[172:173]
	v_fma_f64 v[182:183], v[156:157], s[14:15], -v[180:181]
	v_mul_f64 v[184:185], v[102:103], s[18:19]
	v_fma_f64 v[180:181], v[156:157], s[14:15], v[180:181]
	v_fma_f64 v[190:191], v[156:157], s[24:25], -v[188:189]
	v_mul_f64 v[196:197], v[102:103], s[26:27]
	v_add_f64 v[56:57], v[56:57], v[80:81]
	v_add_f64 v[58:59], v[58:59], v[60:61]
	v_fma_f64 v[188:189], v[156:157], s[24:25], v[188:189]
	v_mul_f64 v[102:103], v[102:103], s[30:31]
	v_fma_f64 v[162:163], v[158:159], s[20:21], v[160:161]
	v_fma_f64 v[160:161], v[158:159], s[20:21], -v[160:161]
	v_add_f64 v[166:167], v[4:5], v[166:167]
	v_fma_f64 v[170:171], v[158:159], s[16:17], v[168:169]
	v_add_f64 v[56:57], v[56:57], v[72:73]
	v_add_f64 v[58:59], v[58:59], v[62:63]
	;; [unrolled: 1-line block ×3, first 2 shown]
	v_fma_f64 v[168:169], v[158:159], s[16:17], -v[168:169]
	v_add_f64 v[174:175], v[4:5], v[174:175]
	v_fma_f64 v[178:179], v[158:159], s[2:3], v[176:177]
	v_add_f64 v[172:173], v[4:5], v[172:173]
	v_fma_f64 v[176:177], v[158:159], s[2:3], -v[176:177]
	v_add_f64 v[56:57], v[56:57], v[64:65]
	v_add_f64 v[58:59], v[58:59], v[70:71]
	;; [unrolled: 1-line block ×3, first 2 shown]
	v_fma_f64 v[186:187], v[158:159], s[14:15], v[184:185]
	v_add_f64 v[180:181], v[4:5], v[180:181]
	v_fma_f64 v[184:185], v[158:159], s[14:15], -v[184:185]
	v_add_f64 v[190:191], v[4:5], v[190:191]
	v_fma_f64 v[198:199], v[158:159], s[24:25], v[196:197]
	v_add_f64 v[56:57], v[56:57], v[66:67]
	v_add_f64 v[58:59], v[58:59], v[78:79]
	;; [unrolled: 1-line block ×3, first 2 shown]
	v_fma_f64 v[196:197], v[158:159], s[24:25], -v[196:197]
	v_fma_f64 v[202:203], v[158:159], s[28:29], v[102:103]
	v_add_f64 v[162:163], v[6:7], v[162:163]
	v_add_f64 v[160:161], v[6:7], v[160:161]
	v_add_f64 v[170:171], v[6:7], v[170:171]
	v_add_f64 v[56:57], v[56:57], v[74:75]
	v_add_f64 v[58:59], v[58:59], v[86:87]
	v_add_f64 v[168:169], v[6:7], v[168:169]
	v_add_f64 v[178:179], v[6:7], v[178:179]
	v_add_f64 v[176:177], v[6:7], v[176:177]
	v_add_f64 v[186:187], v[6:7], v[186:187]
	v_add_f64 v[184:185], v[6:7], v[184:185]
	v_add_f64 v[198:199], v[6:7], v[198:199]
	v_add_f64 v[56:57], v[56:57], v[82:83]
	v_add_f64 v[58:59], v[58:59], v[96:97]
	v_add_f64 v[196:197], v[6:7], v[196:197]
	v_add_f64 v[202:203], v[6:7], v[202:203]
	v_add_f64 v[56:57], v[56:57], v[90:91]
	v_add_f64 v[58:59], v[58:59], v[152:153]
	v_mul_f64 v[152:153], v[100:101], s[46:47]
	v_mul_f64 v[100:101], v[100:101], s[30:31]
	v_add_f64 v[56:57], v[56:57], v[98:99]
	v_fma_f64 v[200:201], v[156:157], s[28:29], -v[100:101]
	v_fma_f64 v[100:101], v[156:157], s[28:29], v[100:101]
	v_add_f64 v[56:57], v[56:57], v[154:155]
	v_fma_f64 v[154:155], v[156:157], s[20:21], -v[152:153]
	v_fma_f64 v[152:153], v[156:157], s[20:21], v[152:153]
	v_add_f64 v[200:201], v[4:5], v[200:201]
	v_add_f64 v[154:155], v[4:5], v[154:155]
	;; [unrolled: 1-line block ×4, first 2 shown]
	v_fma_f64 v[100:101], v[158:159], s[28:29], -v[102:103]
	v_add_f64 v[102:103], v[92:93], v[96:97]
	v_add_f64 v[92:93], v[92:93], -v[96:97]
	v_add_f64 v[6:7], v[6:7], v[100:101]
	v_add_f64 v[100:101], v[94:95], v[98:99]
	v_mul_f64 v[96:97], v[92:93], s[34:35]
	v_add_f64 v[94:95], v[94:95], -v[98:99]
	v_fma_f64 v[98:99], v[100:101], s[16:17], -v[96:97]
	v_fma_f64 v[96:97], v[100:101], s[16:17], v[96:97]
	v_add_f64 v[98:99], v[98:99], v[154:155]
	v_mul_f64 v[154:155], v[94:95], s[34:35]
	v_add_f64 v[96:97], v[96:97], v[152:153]
	v_fma_f64 v[156:157], v[102:103], s[16:17], v[154:155]
	v_fma_f64 v[152:153], v[102:103], s[16:17], -v[154:155]
	v_mul_f64 v[154:155], v[92:93], s[18:19]
	v_add_f64 v[156:157], v[156:157], v[162:163]
	v_add_f64 v[152:153], v[152:153], v[160:161]
	v_fma_f64 v[158:159], v[100:101], s[14:15], -v[154:155]
	v_fma_f64 v[154:155], v[100:101], s[14:15], v[154:155]
	v_mul_f64 v[160:161], v[94:95], s[18:19]
	v_add_f64 v[158:159], v[158:159], v[166:167]
	v_add_f64 v[154:155], v[154:155], v[164:165]
	v_mul_f64 v[164:165], v[92:93], s[30:31]
	v_fma_f64 v[162:163], v[102:103], s[14:15], v[160:161]
	v_fma_f64 v[160:161], v[102:103], s[14:15], -v[160:161]
	v_fma_f64 v[166:167], v[100:101], s[28:29], -v[164:165]
	v_fma_f64 v[164:165], v[100:101], s[28:29], v[164:165]
	v_add_f64 v[160:161], v[160:161], v[168:169]
	v_mul_f64 v[168:169], v[94:95], s[30:31]
	v_add_f64 v[162:163], v[162:163], v[170:171]
	v_add_f64 v[166:167], v[166:167], v[174:175]
	;; [unrolled: 1-line block ×3, first 2 shown]
	v_mul_f64 v[172:173], v[92:93], s[42:43]
	v_fma_f64 v[170:171], v[102:103], s[28:29], v[168:169]
	v_fma_f64 v[168:169], v[102:103], s[28:29], -v[168:169]
	v_fma_f64 v[174:175], v[100:101], s[24:25], -v[172:173]
	v_fma_f64 v[172:173], v[100:101], s[24:25], v[172:173]
	v_add_f64 v[168:169], v[168:169], v[176:177]
	v_mul_f64 v[176:177], v[94:95], s[42:43]
	v_add_f64 v[170:171], v[170:171], v[178:179]
	v_add_f64 v[174:175], v[174:175], v[182:183]
	;; [unrolled: 1-line block ×3, first 2 shown]
	v_mul_f64 v[180:181], v[92:93], s[22:23]
	v_fma_f64 v[178:179], v[102:103], s[24:25], v[176:177]
	v_fma_f64 v[176:177], v[102:103], s[24:25], -v[176:177]
	v_mul_f64 v[92:93], v[92:93], s[36:37]
	v_fma_f64 v[182:183], v[100:101], s[2:3], -v[180:181]
	v_fma_f64 v[180:181], v[100:101], s[2:3], v[180:181]
	v_add_f64 v[176:177], v[176:177], v[184:185]
	v_mul_f64 v[184:185], v[94:95], s[22:23]
	v_mul_f64 v[94:95], v[94:95], s[36:37]
	v_add_f64 v[178:179], v[178:179], v[186:187]
	v_add_f64 v[182:183], v[182:183], v[190:191]
	;; [unrolled: 1-line block ×3, first 2 shown]
	v_fma_f64 v[188:189], v[100:101], s[20:21], -v[92:93]
	v_fma_f64 v[92:93], v[100:101], s[20:21], v[92:93]
	v_fma_f64 v[190:191], v[102:103], s[20:21], v[94:95]
	;; [unrolled: 1-line block ×3, first 2 shown]
	v_fma_f64 v[184:185], v[102:103], s[2:3], -v[184:185]
	v_add_f64 v[188:189], v[188:189], v[200:201]
	v_add_f64 v[4:5], v[92:93], v[4:5]
	v_fma_f64 v[92:93], v[102:103], s[20:21], -v[94:95]
	v_add_f64 v[94:95], v[84:85], v[86:87]
	v_add_f64 v[84:85], v[84:85], -v[86:87]
	v_add_f64 v[184:185], v[184:185], v[196:197]
	v_add_f64 v[190:191], v[190:191], v[202:203]
	;; [unrolled: 1-line block ×5, first 2 shown]
	v_mul_f64 v[86:87], v[84:85], s[38:39]
	v_add_f64 v[88:89], v[88:89], -v[90:91]
	v_fma_f64 v[90:91], v[92:93], s[2:3], -v[86:87]
	v_fma_f64 v[86:87], v[92:93], s[2:3], v[86:87]
	v_add_f64 v[90:91], v[90:91], v[98:99]
	v_mul_f64 v[98:99], v[88:89], s[38:39]
	v_add_f64 v[86:87], v[86:87], v[96:97]
	v_fma_f64 v[100:101], v[94:95], s[2:3], v[98:99]
	v_fma_f64 v[96:97], v[94:95], s[2:3], -v[98:99]
	v_mul_f64 v[98:99], v[84:85], s[30:31]
	v_add_f64 v[100:101], v[100:101], v[156:157]
	v_add_f64 v[96:97], v[96:97], v[152:153]
	v_fma_f64 v[102:103], v[92:93], s[28:29], -v[98:99]
	v_fma_f64 v[98:99], v[92:93], s[28:29], v[98:99]
	v_mul_f64 v[152:153], v[88:89], s[30:31]
	v_add_f64 v[102:103], v[102:103], v[158:159]
	v_add_f64 v[98:99], v[98:99], v[154:155]
	v_mul_f64 v[154:155], v[84:85], s[48:49]
	v_fma_f64 v[156:157], v[94:95], s[28:29], v[152:153]
	v_fma_f64 v[152:153], v[94:95], s[28:29], -v[152:153]
	v_fma_f64 v[158:159], v[92:93], s[14:15], -v[154:155]
	v_fma_f64 v[154:155], v[92:93], s[14:15], v[154:155]
	v_add_f64 v[152:153], v[152:153], v[160:161]
	v_mul_f64 v[160:161], v[88:89], s[48:49]
	v_add_f64 v[156:157], v[156:157], v[162:163]
	v_add_f64 v[158:159], v[158:159], v[166:167]
	;; [unrolled: 1-line block ×3, first 2 shown]
	v_mul_f64 v[164:165], v[84:85], s[36:37]
	v_fma_f64 v[162:163], v[94:95], s[14:15], v[160:161]
	v_fma_f64 v[160:161], v[94:95], s[14:15], -v[160:161]
	v_fma_f64 v[166:167], v[92:93], s[20:21], -v[164:165]
	v_fma_f64 v[164:165], v[92:93], s[20:21], v[164:165]
	v_add_f64 v[160:161], v[160:161], v[168:169]
	v_mul_f64 v[168:169], v[88:89], s[36:37]
	v_add_f64 v[162:163], v[162:163], v[170:171]
	v_add_f64 v[166:167], v[166:167], v[174:175]
	;; [unrolled: 1-line block ×3, first 2 shown]
	v_mul_f64 v[172:173], v[84:85], s[34:35]
	v_fma_f64 v[170:171], v[94:95], s[20:21], v[168:169]
	v_fma_f64 v[168:169], v[94:95], s[20:21], -v[168:169]
	v_mul_f64 v[84:85], v[84:85], s[26:27]
	v_fma_f64 v[174:175], v[92:93], s[16:17], -v[172:173]
	v_fma_f64 v[172:173], v[92:93], s[16:17], v[172:173]
	v_add_f64 v[168:169], v[168:169], v[176:177]
	v_mul_f64 v[176:177], v[88:89], s[34:35]
	v_mul_f64 v[88:89], v[88:89], s[26:27]
	v_add_f64 v[170:171], v[170:171], v[178:179]
	v_add_f64 v[174:175], v[174:175], v[182:183]
	v_add_f64 v[172:173], v[172:173], v[180:181]
	v_fma_f64 v[180:181], v[92:93], s[24:25], -v[84:85]
	v_fma_f64 v[84:85], v[92:93], s[24:25], v[84:85]
	v_fma_f64 v[182:183], v[94:95], s[24:25], v[88:89]
	;; [unrolled: 1-line block ×3, first 2 shown]
	v_fma_f64 v[176:177], v[94:95], s[16:17], -v[176:177]
	v_add_f64 v[180:181], v[180:181], v[188:189]
	v_add_f64 v[4:5], v[84:85], v[4:5]
	v_fma_f64 v[84:85], v[94:95], s[24:25], -v[88:89]
	v_add_f64 v[88:89], v[76:77], v[78:79]
	v_add_f64 v[76:77], v[76:77], -v[78:79]
	v_add_f64 v[176:177], v[176:177], v[184:185]
	v_add_f64 v[182:183], v[182:183], v[190:191]
	;; [unrolled: 1-line block ×3, first 2 shown]
	v_cndmask_b32_e32 v190, v233, v247, vcc
	v_add_f64 v[6:7], v[84:85], v[6:7]
	v_add_f64 v[84:85], v[80:81], v[82:83]
	v_mul_f64 v[78:79], v[76:77], s[18:19]
	v_add_f64 v[80:81], v[80:81], -v[82:83]
	v_fma_f64 v[82:83], v[84:85], s[14:15], -v[78:79]
	v_fma_f64 v[78:79], v[84:85], s[14:15], v[78:79]
	v_add_f64 v[82:83], v[82:83], v[90:91]
	v_mul_f64 v[90:91], v[80:81], s[18:19]
	v_add_f64 v[78:79], v[78:79], v[86:87]
	v_fma_f64 v[92:93], v[88:89], s[14:15], v[90:91]
	v_fma_f64 v[86:87], v[88:89], s[14:15], -v[90:91]
	v_mul_f64 v[90:91], v[76:77], s[42:43]
	v_add_f64 v[92:93], v[92:93], v[100:101]
	v_add_f64 v[86:87], v[86:87], v[96:97]
	v_fma_f64 v[94:95], v[84:85], s[24:25], -v[90:91]
	v_fma_f64 v[90:91], v[84:85], s[24:25], v[90:91]
	v_mul_f64 v[96:97], v[80:81], s[42:43]
	v_add_f64 v[94:95], v[94:95], v[102:103]
	v_add_f64 v[90:91], v[90:91], v[98:99]
	v_mul_f64 v[98:99], v[76:77], s[36:37]
	v_fma_f64 v[100:101], v[88:89], s[24:25], v[96:97]
	v_fma_f64 v[96:97], v[88:89], s[24:25], -v[96:97]
	v_fma_f64 v[102:103], v[84:85], s[20:21], -v[98:99]
	v_fma_f64 v[98:99], v[84:85], s[20:21], v[98:99]
	v_add_f64 v[96:97], v[96:97], v[152:153]
	v_mul_f64 v[152:153], v[80:81], s[36:37]
	v_add_f64 v[100:101], v[100:101], v[156:157]
	v_add_f64 v[102:103], v[102:103], v[158:159]
	;; [unrolled: 1-line block ×3, first 2 shown]
	v_mul_f64 v[154:155], v[76:77], s[38:39]
	v_fma_f64 v[156:157], v[88:89], s[20:21], v[152:153]
	v_fma_f64 v[152:153], v[88:89], s[20:21], -v[152:153]
	v_fma_f64 v[158:159], v[84:85], s[2:3], -v[154:155]
	v_fma_f64 v[154:155], v[84:85], s[2:3], v[154:155]
	v_add_f64 v[152:153], v[152:153], v[160:161]
	v_mul_f64 v[160:161], v[80:81], s[38:39]
	v_add_f64 v[156:157], v[156:157], v[162:163]
	v_add_f64 v[158:159], v[158:159], v[166:167]
	;; [unrolled: 1-line block ×3, first 2 shown]
	v_mul_f64 v[164:165], v[76:77], s[44:45]
	v_fma_f64 v[162:163], v[88:89], s[2:3], v[160:161]
	v_fma_f64 v[160:161], v[88:89], s[2:3], -v[160:161]
	v_mul_f64 v[76:77], v[76:77], s[40:41]
	v_fma_f64 v[166:167], v[84:85], s[28:29], -v[164:165]
	v_fma_f64 v[164:165], v[84:85], s[28:29], v[164:165]
	v_add_f64 v[160:161], v[160:161], v[168:169]
	v_mul_f64 v[168:169], v[80:81], s[44:45]
	v_mul_f64 v[80:81], v[80:81], s[40:41]
	v_add_f64 v[162:163], v[162:163], v[170:171]
	v_add_f64 v[166:167], v[166:167], v[174:175]
	;; [unrolled: 1-line block ×3, first 2 shown]
	v_fma_f64 v[172:173], v[84:85], s[16:17], -v[76:77]
	v_fma_f64 v[76:77], v[84:85], s[16:17], v[76:77]
	v_add_f64 v[84:85], v[68:69], v[70:71]
	v_add_f64 v[68:69], v[68:69], -v[70:71]
	v_fma_f64 v[170:171], v[88:89], s[28:29], v[168:169]
	v_fma_f64 v[168:169], v[88:89], s[28:29], -v[168:169]
	v_fma_f64 v[174:175], v[88:89], s[16:17], v[80:81]
	v_add_f64 v[172:173], v[172:173], v[180:181]
	v_add_f64 v[4:5], v[76:77], v[4:5]
	v_fma_f64 v[76:77], v[88:89], s[16:17], -v[80:81]
	v_mul_f64 v[70:71], v[68:69], s[26:27]
	v_add_f64 v[170:171], v[170:171], v[178:179]
	v_add_f64 v[168:169], v[168:169], v[176:177]
	;; [unrolled: 1-line block ×5, first 2 shown]
	v_add_f64 v[72:73], v[72:73], -v[74:75]
	v_fma_f64 v[74:75], v[76:77], s[24:25], -v[70:71]
	v_fma_f64 v[70:71], v[76:77], s[24:25], v[70:71]
	v_add_f64 v[176:177], v[74:75], v[82:83]
	v_mul_f64 v[74:75], v[72:73], s[26:27]
	v_add_f64 v[70:71], v[70:71], v[78:79]
	v_fma_f64 v[80:81], v[84:85], s[24:25], v[74:75]
	v_fma_f64 v[74:75], v[84:85], s[24:25], -v[74:75]
	v_add_f64 v[178:179], v[80:81], v[92:93]
	v_add_f64 v[180:181], v[74:75], v[86:87]
	v_mul_f64 v[74:75], v[68:69], s[22:23]
	v_fma_f64 v[78:79], v[76:77], s[2:3], -v[74:75]
	v_fma_f64 v[74:75], v[76:77], s[2:3], v[74:75]
	v_add_f64 v[182:183], v[78:79], v[94:95]
	v_mul_f64 v[78:79], v[72:73], s[22:23]
	v_add_f64 v[184:185], v[74:75], v[90:91]
	v_add_f64 v[94:95], v[60:61], -v[62:63]
	v_fma_f64 v[74:75], v[84:85], s[2:3], -v[78:79]
	v_fma_f64 v[80:81], v[84:85], s[2:3], v[78:79]
	v_add_f64 v[96:97], v[74:75], v[96:97]
	v_mul_f64 v[74:75], v[68:69], s[34:35]
	v_add_f64 v[100:101], v[80:81], v[100:101]
	v_fma_f64 v[78:79], v[76:77], s[16:17], -v[74:75]
	v_fma_f64 v[74:75], v[76:77], s[16:17], v[74:75]
	v_add_f64 v[102:103], v[78:79], v[102:103]
	v_mul_f64 v[78:79], v[72:73], s[34:35]
	v_add_f64 v[186:187], v[74:75], v[98:99]
	;; [unrolled: 5-line block ×4, first 2 shown]
	v_fma_f64 v[74:75], v[84:85], s[28:29], -v[78:79]
	v_fma_f64 v[80:81], v[84:85], s[28:29], v[78:79]
	v_add_f64 v[160:161], v[74:75], v[160:161]
	v_mul_f64 v[74:75], v[68:69], s[36:37]
	v_mul_f64 v[68:69], v[68:69], s[18:19]
	v_add_f64 v[162:163], v[80:81], v[162:163]
	v_fma_f64 v[78:79], v[76:77], s[20:21], -v[74:75]
	v_fma_f64 v[74:75], v[76:77], s[20:21], v[74:75]
	v_add_f64 v[92:93], v[78:79], v[166:167]
	v_mul_f64 v[78:79], v[72:73], s[36:37]
	v_add_f64 v[88:89], v[74:75], v[164:165]
	v_mul_f64 v[72:73], v[72:73], s[18:19]
	v_mul_f64 v[164:165], v[94:95], s[18:19]
	v_fma_f64 v[74:75], v[84:85], s[20:21], -v[78:79]
	v_fma_f64 v[80:81], v[84:85], s[20:21], v[78:79]
	v_add_f64 v[78:79], v[64:65], v[66:67]
	v_add_f64 v[86:87], v[74:75], v[168:169]
	v_fma_f64 v[74:75], v[76:77], s[14:15], -v[68:69]
	v_fma_f64 v[68:69], v[76:77], s[14:15], v[68:69]
	v_add_f64 v[90:91], v[80:81], v[170:171]
	v_add_f64 v[82:83], v[74:75], v[172:173]
	v_fma_f64 v[74:75], v[84:85], s[14:15], v[72:73]
	v_add_f64 v[76:77], v[68:69], v[4:5]
	v_fma_f64 v[4:5], v[84:85], s[14:15], -v[72:73]
	v_add_f64 v[84:85], v[64:65], -v[66:67]
	v_mul_f64 v[64:65], v[94:95], s[36:37]
	v_add_f64 v[80:81], v[74:75], v[174:175]
	v_add_f64 v[74:75], v[60:61], v[62:63]
	;; [unrolled: 1-line block ×3, first 2 shown]
	v_mul_f64 v[4:5], v[94:95], s[30:31]
	v_fma_f64 v[66:67], v[78:79], s[20:21], -v[64:65]
	v_fma_f64 v[64:65], v[78:79], s[20:21], v[64:65]
	v_fma_f64 v[6:7], v[78:79], s[28:29], -v[4:5]
	v_fma_f64 v[4:5], v[78:79], s[28:29], v[4:5]
	v_add_f64 v[68:69], v[66:67], v[182:183]
	v_mul_f64 v[66:67], v[84:85], s[36:37]
	v_add_f64 v[64:65], v[64:65], v[184:185]
	v_add_f64 v[60:61], v[6:7], v[176:177]
	;; [unrolled: 1-line block ×3, first 2 shown]
	v_mul_f64 v[6:7], v[84:85], s[30:31]
	v_fma_f64 v[70:71], v[74:75], s[20:21], v[66:67]
	v_fma_f64 v[66:67], v[74:75], s[20:21], -v[66:67]
	v_fma_f64 v[62:63], v[74:75], s[28:29], v[6:7]
	v_add_f64 v[70:71], v[70:71], v[100:101]
	v_mul_f64 v[100:101], v[94:95], s[26:27]
	v_add_f64 v[66:67], v[66:67], v[96:97]
	v_fma_f64 v[6:7], v[74:75], s[28:29], -v[6:7]
	v_add_f64 v[62:63], v[62:63], v[178:179]
	v_fma_f64 v[96:97], v[78:79], s[24:25], -v[100:101]
	v_fma_f64 v[100:101], v[78:79], s[24:25], v[100:101]
	v_add_f64 v[6:7], v[6:7], v[180:181]
	v_add_f64 v[96:97], v[96:97], v[102:103]
	v_mul_f64 v[102:103], v[84:85], s[26:27]
	v_add_f64 v[100:101], v[100:101], v[186:187]
	v_fma_f64 v[98:99], v[74:75], s[24:25], v[102:103]
	v_fma_f64 v[102:103], v[74:75], s[24:25], -v[102:103]
	v_add_f64 v[98:99], v[98:99], v[156:157]
	v_mul_f64 v[156:157], v[94:95], s[40:41]
	v_add_f64 v[102:103], v[102:103], v[152:153]
	v_fma_f64 v[152:153], v[78:79], s[16:17], -v[156:157]
	v_fma_f64 v[156:157], v[78:79], s[16:17], v[156:157]
	v_add_f64 v[152:153], v[152:153], v[158:159]
	v_mul_f64 v[158:159], v[84:85], s[40:41]
	v_add_f64 v[156:157], v[156:157], v[188:189]
	v_fma_f64 v[154:155], v[74:75], s[16:17], v[158:159]
	v_fma_f64 v[158:159], v[74:75], s[16:17], -v[158:159]
	v_add_f64 v[154:155], v[154:155], v[162:163]
	v_add_f64 v[158:159], v[158:159], v[160:161]
	v_fma_f64 v[160:161], v[78:79], s[14:15], -v[164:165]
	v_add_f64 v[160:161], v[160:161], v[92:93]
	v_mul_f64 v[92:93], v[84:85], s[18:19]
	v_fma_f64 v[162:163], v[74:75], s[14:15], v[92:93]
	v_add_f64 v[162:163], v[162:163], v[90:91]
	v_fma_f64 v[90:91], v[78:79], s[14:15], v[164:165]
	v_add_f64 v[88:89], v[90:91], v[88:89]
	v_fma_f64 v[90:91], v[74:75], s[14:15], -v[92:93]
	v_add_f64 v[90:91], v[90:91], v[86:87]
	v_mul_f64 v[86:87], v[94:95], s[22:23]
	v_fma_f64 v[92:93], v[78:79], s[2:3], -v[86:87]
	v_fma_f64 v[78:79], v[78:79], s[2:3], v[86:87]
	v_add_f64 v[82:83], v[92:93], v[82:83]
	v_mul_f64 v[92:93], v[84:85], s[22:23]
	v_add_f64 v[76:77], v[78:79], v[76:77]
	v_fma_f64 v[84:85], v[74:75], s[2:3], v[92:93]
	v_fma_f64 v[74:75], v[74:75], s[2:3], -v[92:93]
	v_add_f64 v[84:85], v[84:85], v[80:81]
	v_add_f64 v[78:79], v[74:75], v[72:73]
	v_lshrrev_b32_e32 v72, 1, v247
	v_mul_u32_u24_e32 v72, 26, v72
	v_or_b32_e32 v72, v72, v195
	v_lshlrev_b32_e32 v229, 4, v72
	ds_write_b128 v229, v[0:3]
	ds_write_b128 v229, v[12:15] offset:32
	ds_write_b128 v229, v[20:23] offset:64
	;; [unrolled: 1-line block ×12, first 2 shown]
	v_lshrrev_b32_e32 v0, 1, v194
	v_mul_u32_u24_e32 v0, 26, v0
	v_or_b32_e32 v0, v0, v195
	v_lshlrev_b32_e32 v231, 4, v0
	ds_write_b128 v231, v[56:59]
	ds_write_b128 v231, v[60:63] offset:32
	ds_write_b128 v231, v[68:71] offset:64
	;; [unrolled: 1-line block ×12, first 2 shown]
	v_mul_i32_i24_e32 v152, 0xc0, v190
	v_mul_hi_i32_i24_e32 v153, 0xc0, v190
	v_add_co_u32_e64 v152, s[0:1], s10, v152
	v_mov_b32_e32 v154, s11
	v_addc_co_u32_e64 v153, s[0:1], v154, v153, s[0:1]
	s_waitcnt lgkmcnt(0)
	; wave barrier
	s_waitcnt lgkmcnt(0)
	ds_read_b128 v[8:11], v228
	ds_read_b128 v[72:75], v228 offset:1664
	ds_read_b128 v[76:79], v228 offset:3328
	;; [unrolled: 1-line block ×25, first 2 shown]
	global_load_dwordx4 v[156:159], v[152:153], off offset:432
	global_load_dwordx4 v[160:163], v[152:153], off offset:416
	;; [unrolled: 1-line block ×4, first 2 shown]
	s_movk_i32 s0, 0x4f
	s_waitcnt vmcnt(0) lgkmcnt(14)
	v_mul_f64 v[154:155], v[74:75], v[170:171]
	v_fma_f64 v[184:185], v[72:73], v[168:169], -v[154:155]
	v_mul_f64 v[72:73], v[72:73], v[170:171]
	buffer_store_dword v168, off, s[52:55], 0 offset:576 ; 4-byte Folded Spill
	s_nop 0
	buffer_store_dword v169, off, s[52:55], 0 offset:580 ; 4-byte Folded Spill
	buffer_store_dword v170, off, s[52:55], 0 offset:584 ; 4-byte Folded Spill
	buffer_store_dword v171, off, s[52:55], 0 offset:588 ; 4-byte Folded Spill
	v_fma_f64 v[182:183], v[74:75], v[168:169], v[72:73]
	v_mul_f64 v[72:73], v[78:79], v[166:167]
	v_fma_f64 v[174:175], v[76:77], v[164:165], -v[72:73]
	v_mul_f64 v[72:73], v[76:77], v[166:167]
	buffer_store_dword v164, off, s[52:55], 0 offset:496 ; 4-byte Folded Spill
	s_nop 0
	buffer_store_dword v165, off, s[52:55], 0 offset:500 ; 4-byte Folded Spill
	buffer_store_dword v166, off, s[52:55], 0 offset:504 ; 4-byte Folded Spill
	buffer_store_dword v167, off, s[52:55], 0 offset:508 ; 4-byte Folded Spill
	v_fma_f64 v[172:173], v[78:79], v[164:165], v[72:73]
	;; [unrolled: 9-line block ×4, first 2 shown]
	global_load_dwordx4 v[76:79], v[152:153], off offset:496
	global_load_dwordx4 v[80:83], v[152:153], off offset:480
	;; [unrolled: 1-line block ×4, first 2 shown]
	s_waitcnt vmcnt(3)
	v_mul_f64 v[74:75], v[100:101], v[78:79]
	s_waitcnt vmcnt(0)
	v_mul_f64 v[72:73], v[90:91], v[156:157]
	v_fma_f64 v[254:255], v[88:89], v[154:155], -v[72:73]
	v_mul_f64 v[72:73], v[88:89], v[156:157]
	buffer_store_dword v154, off, s[52:55], 0 offset:608 ; 4-byte Folded Spill
	s_nop 0
	buffer_store_dword v155, off, s[52:55], 0 offset:612 ; 4-byte Folded Spill
	buffer_store_dword v156, off, s[52:55], 0 offset:616 ; 4-byte Folded Spill
	buffer_store_dword v157, off, s[52:55], 0 offset:620 ; 4-byte Folded Spill
	v_fma_f64 v[248:249], v[90:91], v[154:155], v[72:73]
	v_mul_f64 v[72:73], v[94:95], v[86:87]
	v_fma_f64 v[160:161], v[92:93], v[84:85], -v[72:73]
	v_mul_f64 v[72:73], v[92:93], v[86:87]
	buffer_store_dword v84, off, s[52:55], 0 offset:528 ; 4-byte Folded Spill
	s_nop 0
	buffer_store_dword v85, off, s[52:55], 0 offset:532 ; 4-byte Folded Spill
	buffer_store_dword v86, off, s[52:55], 0 offset:536 ; 4-byte Folded Spill
	buffer_store_dword v87, off, s[52:55], 0 offset:540 ; 4-byte Folded Spill
	v_fma_f64 v[156:157], v[94:95], v[84:85], v[72:73]
	;; [unrolled: 9-line block ×3, first 2 shown]
	v_mul_f64 v[72:73], v[102:103], v[78:79]
	v_fma_f64 v[72:73], v[100:101], v[76:77], -v[72:73]
	buffer_store_dword v76, off, s[52:55], 0 offset:480 ; 4-byte Folded Spill
	s_nop 0
	buffer_store_dword v77, off, s[52:55], 0 offset:484 ; 4-byte Folded Spill
	buffer_store_dword v78, off, s[52:55], 0 offset:488 ; 4-byte Folded Spill
	;; [unrolled: 1-line block ×3, first 2 shown]
	v_fma_f64 v[250:251], v[102:103], v[76:77], v[74:75]
	global_load_dwordx4 v[76:79], v[152:153], off offset:560
	global_load_dwordx4 v[80:83], v[152:153], off offset:544
	;; [unrolled: 1-line block ×4, first 2 shown]
	s_waitcnt vmcnt(0)
	v_mul_f64 v[74:75], v[70:71], v[90:91]
	v_fma_f64 v[176:177], v[68:69], v[88:89], -v[74:75]
	v_mul_f64 v[68:69], v[68:69], v[90:91]
	buffer_store_dword v88, off, s[52:55], 0 offset:624 ; 4-byte Folded Spill
	s_nop 0
	buffer_store_dword v89, off, s[52:55], 0 offset:628 ; 4-byte Folded Spill
	buffer_store_dword v90, off, s[52:55], 0 offset:632 ; 4-byte Folded Spill
	buffer_store_dword v91, off, s[52:55], 0 offset:636 ; 4-byte Folded Spill
	v_fma_f64 v[168:169], v[70:71], v[88:89], v[68:69]
	v_mul_f64 v[68:69], v[66:67], v[86:87]
	v_fma_f64 v[180:181], v[64:65], v[84:85], -v[68:69]
	v_mul_f64 v[64:65], v[64:65], v[86:87]
	buffer_store_dword v84, off, s[52:55], 0 offset:592 ; 4-byte Folded Spill
	s_nop 0
	buffer_store_dword v85, off, s[52:55], 0 offset:596 ; 4-byte Folded Spill
	buffer_store_dword v86, off, s[52:55], 0 offset:600 ; 4-byte Folded Spill
	buffer_store_dword v87, off, s[52:55], 0 offset:604 ; 4-byte Folded Spill
	v_fma_f64 v[178:179], v[66:67], v[84:85], v[64:65]
	;; [unrolled: 9-line block ×3, first 2 shown]
	s_waitcnt lgkmcnt(13)
	v_mul_f64 v[60:61], v[58:59], v[78:79]
	v_fma_f64 v[195:196], v[56:57], v[76:77], -v[60:61]
	v_mul_f64 v[56:57], v[56:57], v[78:79]
	buffer_store_dword v76, off, s[52:55], 0 offset:544 ; 4-byte Folded Spill
	s_nop 0
	buffer_store_dword v77, off, s[52:55], 0 offset:548 ; 4-byte Folded Spill
	buffer_store_dword v78, off, s[52:55], 0 offset:552 ; 4-byte Folded Spill
	;; [unrolled: 1-line block ×3, first 2 shown]
	v_fma_f64 v[56:57], v[58:59], v[76:77], v[56:57]
	v_mul_lo_u16_sdwa v58, v194, s0 dst_sel:DWORD dst_unused:UNUSED_PAD src0_sel:BYTE_0 src1_sel:DWORD
	v_lshrrev_b16_e32 v191, 11, v58
	v_mul_lo_u16_e32 v58, 26, v191
	v_sub_u16_e32 v58, v194, v58
	v_and_b32_e32 v194, 0xff, v58
	v_mov_b32_e32 v59, s11
	v_mov_b32_e32 v58, s10
	v_mad_u64_u32 v[58:59], s[0:1], v194, s33, v[58:59]
	global_load_dwordx4 v[62:65], v[58:59], off offset:432
	global_load_dwordx4 v[66:69], v[58:59], off offset:416
	;; [unrolled: 1-line block ×4, first 2 shown]
	v_cmp_lt_u16_e64 s[0:1], 25, v247
	s_waitcnt vmcnt(0) lgkmcnt(11)
	v_mul_f64 v[60:61], v[54:55], v[80:81]
	v_fma_f64 v[102:103], v[52:53], v[78:79], -v[60:61]
	v_mul_f64 v[52:53], v[52:53], v[80:81]
	buffer_store_dword v78, off, s[52:55], 0 offset:688 ; 4-byte Folded Spill
	s_nop 0
	buffer_store_dword v79, off, s[52:55], 0 offset:692 ; 4-byte Folded Spill
	buffer_store_dword v80, off, s[52:55], 0 offset:696 ; 4-byte Folded Spill
	buffer_store_dword v81, off, s[52:55], 0 offset:700 ; 4-byte Folded Spill
	v_fma_f64 v[100:101], v[54:55], v[78:79], v[52:53]
	s_waitcnt lgkmcnt(10)
	v_mul_f64 v[52:53], v[50:51], v[76:77]
	v_fma_f64 v[92:93], v[48:49], v[74:75], -v[52:53]
	v_mul_f64 v[48:49], v[48:49], v[76:77]
	buffer_store_dword v74, off, s[52:55], 0 offset:672 ; 4-byte Folded Spill
	s_nop 0
	buffer_store_dword v75, off, s[52:55], 0 offset:676 ; 4-byte Folded Spill
	buffer_store_dword v76, off, s[52:55], 0 offset:680 ; 4-byte Folded Spill
	buffer_store_dword v77, off, s[52:55], 0 offset:684 ; 4-byte Folded Spill
	v_fma_f64 v[90:91], v[50:51], v[74:75], v[48:49]
	s_waitcnt lgkmcnt(9)
	;; [unrolled: 10-line block ×3, first 2 shown]
	v_mul_f64 v[44:45], v[42:43], v[64:65]
	v_fma_f64 v[78:79], v[40:41], v[62:63], -v[44:45]
	v_mul_f64 v[40:41], v[40:41], v[64:65]
	buffer_store_dword v62, off, s[52:55], 0 offset:640 ; 4-byte Folded Spill
	s_nop 0
	buffer_store_dword v63, off, s[52:55], 0 offset:644 ; 4-byte Folded Spill
	buffer_store_dword v64, off, s[52:55], 0 offset:648 ; 4-byte Folded Spill
	buffer_store_dword v65, off, s[52:55], 0 offset:652 ; 4-byte Folded Spill
	v_fma_f64 v[76:77], v[42:43], v[62:63], v[40:41]
	global_load_dwordx4 v[42:45], v[58:59], off offset:496
	global_load_dwordx4 v[46:49], v[58:59], off offset:480
	;; [unrolled: 1-line block ×4, first 2 shown]
	s_waitcnt vmcnt(0) lgkmcnt(7)
	v_mul_f64 v[40:41], v[38:39], v[64:65]
	v_fma_f64 v[60:61], v[36:37], v[62:63], -v[40:41]
	v_mul_f64 v[36:37], v[36:37], v[64:65]
	buffer_store_dword v62, off, s[52:55], 0 offset:784 ; 4-byte Folded Spill
	s_nop 0
	buffer_store_dword v63, off, s[52:55], 0 offset:788 ; 4-byte Folded Spill
	buffer_store_dword v64, off, s[52:55], 0 offset:792 ; 4-byte Folded Spill
	buffer_store_dword v65, off, s[52:55], 0 offset:796 ; 4-byte Folded Spill
	v_fma_f64 v[68:69], v[38:39], v[62:63], v[36:37]
	s_waitcnt lgkmcnt(6)
	v_mul_f64 v[36:37], v[34:35], v[52:53]
	v_fma_f64 v[64:65], v[32:33], v[50:51], -v[36:37]
	v_mul_f64 v[32:33], v[32:33], v[52:53]
	buffer_store_dword v50, off, s[52:55], 0 offset:736 ; 4-byte Folded Spill
	s_nop 0
	buffer_store_dword v51, off, s[52:55], 0 offset:740 ; 4-byte Folded Spill
	buffer_store_dword v52, off, s[52:55], 0 offset:744 ; 4-byte Folded Spill
	buffer_store_dword v53, off, s[52:55], 0 offset:748 ; 4-byte Folded Spill
	v_fma_f64 v[203:204], v[34:35], v[50:51], v[32:33]
	s_waitcnt lgkmcnt(5)
	;; [unrolled: 10-line block ×3, first 2 shown]
	v_mul_f64 v[28:29], v[26:27], v[44:45]
	v_fma_f64 v[74:75], v[24:25], v[42:43], -v[28:29]
	v_mul_f64 v[24:25], v[24:25], v[44:45]
	buffer_store_dword v42, off, s[52:55], 0 offset:704 ; 4-byte Folded Spill
	s_nop 0
	buffer_store_dword v43, off, s[52:55], 0 offset:708 ; 4-byte Folded Spill
	buffer_store_dword v44, off, s[52:55], 0 offset:712 ; 4-byte Folded Spill
	;; [unrolled: 1-line block ×3, first 2 shown]
	v_fma_f64 v[70:71], v[26:27], v[42:43], v[24:25]
	global_load_dwordx4 v[26:29], v[58:59], off offset:560
	global_load_dwordx4 v[30:33], v[58:59], off offset:544
	;; [unrolled: 1-line block ×4, first 2 shown]
	s_waitcnt vmcnt(0) lgkmcnt(3)
	v_mul_f64 v[24:25], v[22:23], v[40:41]
	v_fma_f64 v[84:85], v[20:21], v[38:39], -v[24:25]
	v_mul_f64 v[20:21], v[20:21], v[40:41]
	buffer_store_dword v38, off, s[52:55], 0 offset:816 ; 4-byte Folded Spill
	s_nop 0
	buffer_store_dword v39, off, s[52:55], 0 offset:820 ; 4-byte Folded Spill
	buffer_store_dword v40, off, s[52:55], 0 offset:824 ; 4-byte Folded Spill
	;; [unrolled: 1-line block ×3, first 2 shown]
	v_fma_f64 v[80:81], v[22:23], v[38:39], v[20:21]
	s_waitcnt lgkmcnt(2)
	v_mul_f64 v[20:21], v[18:19], v[36:37]
	v_fma_f64 v[94:95], v[16:17], v[34:35], -v[20:21]
	v_mul_f64 v[16:17], v[16:17], v[36:37]
	buffer_store_dword v34, off, s[52:55], 0 offset:800 ; 4-byte Folded Spill
	s_nop 0
	buffer_store_dword v35, off, s[52:55], 0 offset:804 ; 4-byte Folded Spill
	buffer_store_dword v36, off, s[52:55], 0 offset:808 ; 4-byte Folded Spill
	;; [unrolled: 1-line block ×3, first 2 shown]
	v_fma_f64 v[88:89], v[18:19], v[34:35], v[16:17]
	s_waitcnt lgkmcnt(1)
	v_mul_f64 v[16:17], v[14:15], v[32:33]
	v_add_f64 v[18:19], v[182:183], -v[56:57]
	v_fma_f64 v[98:99], v[12:13], v[30:31], -v[16:17]
	v_mul_f64 v[12:13], v[12:13], v[32:33]
	buffer_store_dword v30, off, s[52:55], 0 offset:768 ; 4-byte Folded Spill
	s_nop 0
	buffer_store_dword v31, off, s[52:55], 0 offset:772 ; 4-byte Folded Spill
	buffer_store_dword v32, off, s[52:55], 0 offset:776 ; 4-byte Folded Spill
	;; [unrolled: 1-line block ×3, first 2 shown]
	v_add_f64 v[16:17], v[184:185], -v[195:196]
	v_mul_f64 v[20:21], v[18:19], s[46:47]
	v_mul_f64 v[36:37], v[18:19], s[38:39]
	;; [unrolled: 1-line block ×8, first 2 shown]
	v_fma_f64 v[96:97], v[14:15], v[30:31], v[12:13]
	s_waitcnt lgkmcnt(0)
	v_mul_f64 v[12:13], v[2:3], v[28:29]
	v_add_f64 v[14:15], v[182:183], v[56:57]
	v_fma_f64 v[154:155], v[0:1], v[26:27], -v[12:13]
	v_mul_f64 v[0:1], v[0:1], v[28:29]
	buffer_store_dword v26, off, s[52:55], 0 offset:752 ; 4-byte Folded Spill
	s_nop 0
	buffer_store_dword v27, off, s[52:55], 0 offset:756 ; 4-byte Folded Spill
	buffer_store_dword v28, off, s[52:55], 0 offset:760 ; 4-byte Folded Spill
	;; [unrolled: 1-line block ×3, first 2 shown]
	v_add_f64 v[12:13], v[184:185], v[195:196]
	v_mul_f64 v[28:29], v[18:19], s[34:35]
	v_mul_f64 v[18:19], v[18:19], s[30:31]
	v_fma_f64 v[34:35], v[14:15], s[16:17], v[32:33]
	v_fma_f64 v[32:33], v[14:15], s[16:17], -v[32:33]
	v_fma_f64 v[42:43], v[14:15], s[2:3], v[40:41]
	v_fma_f64 v[40:41], v[14:15], s[2:3], -v[40:41]
	;; [unrolled: 2-line block ×7, first 2 shown]
	v_fma_f64 v[52:53], v[12:13], s[24:25], v[52:53]
	v_add_f64 v[22:23], v[8:9], v[22:23]
	v_add_f64 v[20:21], v[8:9], v[20:21]
	;; [unrolled: 1-line block ×8, first 2 shown]
	v_fma_f64 v[48:49], v[14:15], s[14:15], -v[48:49]
	v_add_f64 v[54:55], v[8:9], v[54:55]
	v_add_f64 v[52:53], v[8:9], v[52:53]
	v_add_f64 v[34:35], v[10:11], v[34:35]
	v_add_f64 v[32:33], v[10:11], v[32:33]
	v_add_f64 v[42:43], v[10:11], v[42:43]
	v_add_f64 v[40:41], v[10:11], v[40:41]
	v_add_f64 v[50:51], v[10:11], v[50:51]
	v_add_f64 v[48:49], v[10:11], v[48:49]
	s_waitcnt lgkmcnt(0)
	; wave barrier
	v_fma_f64 v[152:153], v[2:3], v[26:27], v[0:1]
	v_add_f64 v[2:3], v[10:11], v[182:183]
	v_fma_f64 v[182:183], v[12:13], s[28:29], -v[18:19]
	v_fma_f64 v[12:13], v[12:13], s[28:29], v[18:19]
	v_add_f64 v[0:1], v[8:9], v[184:185]
	v_fma_f64 v[26:27], v[14:15], s[20:21], v[24:25]
	v_fma_f64 v[24:25], v[14:15], s[20:21], -v[24:25]
	v_add_f64 v[18:19], v[172:173], -v[186:187]
	v_add_f64 v[2:3], v[2:3], v[172:173]
	v_add_f64 v[182:183], v[8:9], v[182:183]
	;; [unrolled: 1-line block ×25, first 2 shown]
	v_mul_f64 v[56:57], v[16:17], s[26:27]
	v_mul_f64 v[16:17], v[16:17], s[30:31]
	v_add_f64 v[0:1], v[0:1], v[195:196]
	v_fma_f64 v[58:59], v[14:15], s[24:25], v[56:57]
	v_fma_f64 v[56:57], v[14:15], s[24:25], -v[56:57]
	v_fma_f64 v[184:185], v[14:15], s[28:29], v[16:17]
	v_fma_f64 v[12:13], v[14:15], s[28:29], -v[16:17]
	v_add_f64 v[14:15], v[172:173], v[186:187]
	v_mul_f64 v[172:173], v[18:19], s[34:35]
	v_add_f64 v[16:17], v[174:175], -v[188:189]
	v_add_f64 v[58:59], v[10:11], v[58:59]
	v_add_f64 v[56:57], v[10:11], v[56:57]
	;; [unrolled: 1-line block ×5, first 2 shown]
	v_fma_f64 v[174:175], v[12:13], s[16:17], -v[172:173]
	v_fma_f64 v[172:173], v[12:13], s[16:17], v[172:173]
	v_add_f64 v[22:23], v[174:175], v[22:23]
	v_mul_f64 v[174:175], v[16:17], s[34:35]
	v_add_f64 v[20:21], v[172:173], v[20:21]
	v_fma_f64 v[172:173], v[14:15], s[16:17], -v[174:175]
	v_fma_f64 v[186:187], v[14:15], s[16:17], v[174:175]
	v_add_f64 v[24:25], v[172:173], v[24:25]
	v_mul_f64 v[172:173], v[18:19], s[18:19]
	v_add_f64 v[26:27], v[186:187], v[26:27]
	;; [unrolled: 5-line block ×7, first 2 shown]
	v_fma_f64 v[172:173], v[14:15], s[24:25], -v[174:175]
	v_fma_f64 v[186:187], v[14:15], s[24:25], v[174:175]
	v_add_f64 v[48:49], v[172:173], v[48:49]
	v_mul_f64 v[172:173], v[18:19], s[22:23]
	v_mul_f64 v[18:19], v[18:19], s[36:37]
	v_add_f64 v[50:51], v[186:187], v[50:51]
	v_fma_f64 v[174:175], v[12:13], s[2:3], -v[172:173]
	v_fma_f64 v[172:173], v[12:13], s[2:3], v[172:173]
	v_add_f64 v[54:55], v[174:175], v[54:55]
	v_mul_f64 v[174:175], v[16:17], s[22:23]
	v_add_f64 v[52:53], v[172:173], v[52:53]
	v_mul_f64 v[16:17], v[16:17], s[36:37]
	v_fma_f64 v[172:173], v[14:15], s[2:3], -v[174:175]
	v_fma_f64 v[186:187], v[14:15], s[2:3], v[174:175]
	v_fma_f64 v[174:175], v[14:15], s[20:21], v[16:17]
	v_add_f64 v[56:57], v[172:173], v[56:57]
	v_fma_f64 v[172:173], v[12:13], s[20:21], -v[18:19]
	v_fma_f64 v[12:13], v[12:13], s[20:21], v[18:19]
	v_add_f64 v[18:19], v[166:167], -v[178:179]
	v_add_f64 v[174:175], v[174:175], v[184:185]
	v_add_f64 v[58:59], v[186:187], v[58:59]
	;; [unrolled: 1-line block ×4, first 2 shown]
	v_fma_f64 v[12:13], v[14:15], s[20:21], -v[16:17]
	v_add_f64 v[14:15], v[166:167], v[178:179]
	v_mul_f64 v[166:167], v[18:19], s[38:39]
	v_add_f64 v[16:17], v[170:171], -v[180:181]
	v_add_f64 v[10:11], v[12:13], v[10:11]
	v_add_f64 v[12:13], v[170:171], v[180:181]
	v_fma_f64 v[170:171], v[12:13], s[2:3], -v[166:167]
	v_fma_f64 v[166:167], v[12:13], s[2:3], v[166:167]
	v_add_f64 v[22:23], v[170:171], v[22:23]
	v_mul_f64 v[170:171], v[16:17], s[38:39]
	v_add_f64 v[20:21], v[166:167], v[20:21]
	v_fma_f64 v[166:167], v[14:15], s[2:3], -v[170:171]
	v_fma_f64 v[178:179], v[14:15], s[2:3], v[170:171]
	v_add_f64 v[24:25], v[166:167], v[24:25]
	v_mul_f64 v[166:167], v[18:19], s[30:31]
	;; [unrolled: 5-line block ×8, first 2 shown]
	v_mul_f64 v[18:19], v[18:19], s[26:27]
	v_add_f64 v[50:51], v[178:179], v[50:51]
	v_fma_f64 v[170:171], v[12:13], s[16:17], -v[166:167]
	v_fma_f64 v[166:167], v[12:13], s[16:17], v[166:167]
	v_add_f64 v[54:55], v[170:171], v[54:55]
	v_mul_f64 v[170:171], v[16:17], s[34:35]
	v_add_f64 v[52:53], v[166:167], v[52:53]
	v_mul_f64 v[16:17], v[16:17], s[26:27]
	v_fma_f64 v[166:167], v[14:15], s[16:17], -v[170:171]
	v_fma_f64 v[178:179], v[14:15], s[16:17], v[170:171]
	v_fma_f64 v[170:171], v[14:15], s[24:25], v[16:17]
	v_add_f64 v[56:57], v[166:167], v[56:57]
	v_fma_f64 v[166:167], v[12:13], s[24:25], -v[18:19]
	v_fma_f64 v[12:13], v[12:13], s[24:25], v[18:19]
	v_add_f64 v[18:19], v[252:253], -v[168:169]
	v_add_f64 v[170:171], v[170:171], v[174:175]
	v_add_f64 v[58:59], v[178:179], v[58:59]
	;; [unrolled: 1-line block ×4, first 2 shown]
	v_fma_f64 v[12:13], v[14:15], s[24:25], -v[16:17]
	v_add_f64 v[16:17], v[164:165], -v[176:177]
	v_add_f64 v[14:15], v[252:253], v[168:169]
	v_add_f64 v[10:11], v[12:13], v[10:11]
	;; [unrolled: 1-line block ×3, first 2 shown]
	v_mul_f64 v[164:165], v[18:19], s[18:19]
	v_fma_f64 v[168:169], v[12:13], s[14:15], -v[164:165]
	v_fma_f64 v[164:165], v[12:13], s[14:15], v[164:165]
	v_add_f64 v[22:23], v[168:169], v[22:23]
	v_mul_f64 v[168:169], v[16:17], s[18:19]
	v_add_f64 v[20:21], v[164:165], v[20:21]
	v_fma_f64 v[164:165], v[14:15], s[14:15], -v[168:169]
	v_fma_f64 v[172:173], v[14:15], s[14:15], v[168:169]
	v_add_f64 v[24:25], v[164:165], v[24:25]
	v_mul_f64 v[164:165], v[18:19], s[42:43]
	v_add_f64 v[26:27], v[172:173], v[26:27]
	;; [unrolled: 5-line block ×7, first 2 shown]
	v_fma_f64 v[164:165], v[14:15], s[2:3], -v[168:169]
	v_fma_f64 v[172:173], v[14:15], s[2:3], v[168:169]
	v_add_f64 v[48:49], v[164:165], v[48:49]
	v_mul_f64 v[164:165], v[18:19], s[44:45]
	v_mul_f64 v[18:19], v[18:19], s[40:41]
	v_add_f64 v[50:51], v[172:173], v[50:51]
	v_fma_f64 v[168:169], v[12:13], s[28:29], -v[164:165]
	v_fma_f64 v[164:165], v[12:13], s[28:29], v[164:165]
	v_add_f64 v[54:55], v[168:169], v[54:55]
	v_mul_f64 v[168:169], v[16:17], s[44:45]
	v_add_f64 v[52:53], v[164:165], v[52:53]
	v_mul_f64 v[16:17], v[16:17], s[40:41]
	v_fma_f64 v[164:165], v[14:15], s[28:29], -v[168:169]
	v_fma_f64 v[172:173], v[14:15], s[28:29], v[168:169]
	v_add_f64 v[56:57], v[164:165], v[56:57]
	v_fma_f64 v[164:165], v[12:13], s[16:17], -v[18:19]
	v_fma_f64 v[12:13], v[12:13], s[16:17], v[18:19]
	v_add_f64 v[18:19], v[248:249], -v[250:251]
	v_add_f64 v[58:59], v[172:173], v[58:59]
	v_add_f64 v[164:165], v[164:165], v[166:167]
	;; [unrolled: 1-line block ×3, first 2 shown]
	v_fma_f64 v[12:13], v[14:15], s[16:17], -v[16:17]
	v_fma_f64 v[166:167], v[14:15], s[16:17], v[16:17]
	v_add_f64 v[16:17], v[254:255], -v[72:73]
	v_add_f64 v[14:15], v[248:249], v[250:251]
	v_add_f64 v[10:11], v[12:13], v[10:11]
	;; [unrolled: 1-line block ×3, first 2 shown]
	v_mul_f64 v[72:73], v[18:19], s[26:27]
	v_add_f64 v[166:167], v[166:167], v[170:171]
	v_fma_f64 v[168:169], v[12:13], s[24:25], -v[72:73]
	v_fma_f64 v[72:73], v[12:13], s[24:25], v[72:73]
	v_add_f64 v[22:23], v[168:169], v[22:23]
	v_mul_f64 v[168:169], v[16:17], s[26:27]
	v_add_f64 v[20:21], v[72:73], v[20:21]
	v_fma_f64 v[72:73], v[14:15], s[24:25], -v[168:169]
	v_fma_f64 v[170:171], v[14:15], s[24:25], v[168:169]
	v_add_f64 v[24:25], v[72:73], v[24:25]
	;; [unrolled: 5-line block ×4, first 2 shown]
	v_mul_f64 v[72:73], v[18:19], s[34:35]
	v_add_f64 v[34:35], v[170:171], v[34:35]
	v_fma_f64 v[168:169], v[12:13], s[16:17], -v[72:73]
	v_add_f64 v[38:39], v[168:169], v[38:39]
	v_mul_f64 v[168:169], v[16:17], s[34:35]
	v_fma_f64 v[170:171], v[14:15], s[16:17], v[168:169]
	v_add_f64 v[170:171], v[170:171], v[42:43]
	v_fma_f64 v[42:43], v[12:13], s[16:17], v[72:73]
	v_add_f64 v[72:73], v[160:161], -v[162:163]
	v_add_f64 v[36:37], v[42:43], v[36:37]
	v_fma_f64 v[42:43], v[14:15], s[16:17], -v[168:169]
	v_add_f64 v[168:169], v[42:43], v[40:41]
	v_mul_f64 v[40:41], v[18:19], s[44:45]
	v_fma_f64 v[42:43], v[12:13], s[28:29], -v[40:41]
	v_fma_f64 v[40:41], v[12:13], s[28:29], v[40:41]
	v_add_f64 v[172:173], v[42:43], v[46:47]
	v_mul_f64 v[42:43], v[16:17], s[44:45]
	v_add_f64 v[176:177], v[40:41], v[44:45]
	v_mul_f64 v[44:45], v[18:19], s[36:37]
	v_mul_f64 v[18:19], v[18:19], s[18:19]
	v_fma_f64 v[46:47], v[14:15], s[28:29], v[42:43]
	v_fma_f64 v[40:41], v[14:15], s[28:29], -v[42:43]
	v_add_f64 v[174:175], v[46:47], v[50:51]
	v_mul_f64 v[46:47], v[16:17], s[36:37]
	v_add_f64 v[178:179], v[40:41], v[48:49]
	v_fma_f64 v[40:41], v[12:13], s[20:21], -v[44:45]
	v_fma_f64 v[44:45], v[12:13], s[20:21], v[44:45]
	v_fma_f64 v[48:49], v[12:13], s[14:15], -v[18:19]
	v_mul_f64 v[16:17], v[16:17], s[18:19]
	v_fma_f64 v[12:13], v[12:13], s[14:15], v[18:19]
	v_fma_f64 v[42:43], v[14:15], s[20:21], v[46:47]
	v_fma_f64 v[46:47], v[14:15], s[20:21], -v[46:47]
	v_add_f64 v[40:41], v[40:41], v[54:55]
	v_add_f64 v[44:45], v[44:45], v[52:53]
	;; [unrolled: 1-line block ×3, first 2 shown]
	v_fma_f64 v[50:51], v[14:15], s[14:15], v[16:17]
	v_add_f64 v[52:53], v[12:13], v[8:9]
	v_fma_f64 v[8:9], v[14:15], s[14:15], -v[16:17]
	v_add_f64 v[42:43], v[42:43], v[58:59]
	v_add_f64 v[46:47], v[46:47], v[56:57]
	;; [unrolled: 1-line block ×3, first 2 shown]
	v_add_f64 v[156:157], v[156:157], -v[158:159]
	v_add_f64 v[58:59], v[160:161], v[162:163]
	v_add_f64 v[50:51], v[50:51], v[166:167]
	v_add_f64 v[54:55], v[8:9], v[10:11]
	v_mul_f64 v[8:9], v[156:157], s[30:31]
	v_mul_f64 v[16:17], v[156:157], s[36:37]
	;; [unrolled: 1-line block ×3, first 2 shown]
	v_fma_f64 v[10:11], v[58:59], s[28:29], -v[8:9]
	v_fma_f64 v[18:19], v[58:59], s[20:21], -v[16:17]
	v_fma_f64 v[16:17], v[58:59], s[20:21], v[16:17]
	v_fma_f64 v[8:9], v[58:59], s[28:29], v[8:9]
	v_fma_f64 v[160:161], v[58:59], s[14:15], -v[158:159]
	v_fma_f64 v[158:159], v[58:59], s[14:15], v[158:159]
	v_add_f64 v[12:13], v[10:11], v[22:23]
	v_mul_f64 v[10:11], v[72:73], s[30:31]
	v_add_f64 v[16:17], v[16:17], v[28:29]
	v_mul_f64 v[28:29], v[156:157], s[26:27]
	v_add_f64 v[8:9], v[8:9], v[20:21]
	v_add_f64 v[20:21], v[18:19], v[30:31]
	v_mul_f64 v[18:19], v[72:73], s[36:37]
	v_add_f64 v[40:41], v[160:161], v[40:41]
	v_mul_f64 v[160:161], v[72:73], s[18:19]
	v_fma_f64 v[14:15], v[56:57], s[28:29], v[10:11]
	v_fma_f64 v[10:11], v[56:57], s[28:29], -v[10:11]
	v_add_f64 v[44:45], v[158:159], v[44:45]
	v_mul_f64 v[30:31], v[72:73], s[26:27]
	v_fma_f64 v[22:23], v[56:57], s[20:21], v[18:19]
	v_fma_f64 v[18:19], v[56:57], s[20:21], -v[18:19]
	v_fma_f64 v[158:159], v[56:57], s[14:15], -v[160:161]
	v_add_f64 v[14:15], v[14:15], v[26:27]
	v_add_f64 v[10:11], v[10:11], v[24:25]
	v_fma_f64 v[24:25], v[58:59], s[24:25], -v[28:29]
	v_fma_f64 v[28:29], v[58:59], s[24:25], v[28:29]
	v_fma_f64 v[26:27], v[56:57], s[24:25], v[30:31]
	v_add_f64 v[22:23], v[22:23], v[34:35]
	v_add_f64 v[18:19], v[18:19], v[32:33]
	;; [unrolled: 1-line block ×3, first 2 shown]
	v_fma_f64 v[30:31], v[56:57], s[24:25], -v[30:31]
	v_fma_f64 v[162:163], v[56:57], s[14:15], v[160:161]
	v_add_f64 v[24:25], v[24:25], v[38:39]
	v_add_f64 v[28:29], v[28:29], v[36:37]
	v_mul_f64 v[36:37], v[156:157], s[40:41]
	v_mul_f64 v[156:157], v[156:157], s[22:23]
	;; [unrolled: 1-line block ×4, first 2 shown]
	v_add_f64 v[26:27], v[26:27], v[170:171]
	v_add_f64 v[42:43], v[162:163], v[42:43]
	v_add_f64 v[30:31], v[30:31], v[168:169]
	v_fma_f64 v[32:33], v[58:59], s[16:17], -v[36:37]
	v_fma_f64 v[36:37], v[58:59], s[16:17], v[36:37]
	v_fma_f64 v[158:159], v[58:59], s[2:3], -v[156:157]
	v_fma_f64 v[58:59], v[58:59], s[2:3], v[156:157]
	v_fma_f64 v[34:35], v[56:57], s[16:17], v[38:39]
	v_fma_f64 v[38:39], v[56:57], s[16:17], -v[38:39]
	v_add_f64 v[156:157], v[100:101], v[152:153]
	v_add_f64 v[32:33], v[32:33], v[172:173]
	v_add_f64 v[36:37], v[36:37], v[176:177]
	v_add_f64 v[48:49], v[158:159], v[48:49]
	v_fma_f64 v[158:159], v[56:57], s[2:3], v[72:73]
	v_add_f64 v[52:53], v[58:59], v[52:53]
	v_fma_f64 v[56:57], v[56:57], s[2:3], -v[72:73]
	v_add_f64 v[58:59], v[6:7], v[100:101]
	v_add_f64 v[100:101], v[100:101], -v[152:153]
	v_add_f64 v[38:39], v[38:39], v[178:179]
	v_add_f64 v[72:73], v[102:103], v[154:155]
	;; [unrolled: 1-line block ×7, first 2 shown]
	v_add_f64 v[102:103], v[102:103], -v[154:155]
	v_mul_f64 v[162:163], v[100:101], s[34:35]
	v_mul_f64 v[170:171], v[100:101], s[38:39]
	v_mul_f64 v[178:179], v[100:101], s[18:19]
	v_mul_f64 v[186:187], v[100:101], s[26:27]
	v_add_f64 v[56:57], v[56:57], v[92:93]
	v_add_f64 v[58:59], v[58:59], v[82:83]
	v_mul_f64 v[158:159], v[102:103], s[46:47]
	v_fma_f64 v[164:165], v[72:73], s[16:17], -v[162:163]
	v_mul_f64 v[166:167], v[102:103], s[34:35]
	v_fma_f64 v[162:163], v[72:73], s[16:17], v[162:163]
	v_fma_f64 v[172:173], v[72:73], s[2:3], -v[170:171]
	v_mul_f64 v[174:175], v[102:103], s[38:39]
	v_add_f64 v[56:57], v[56:57], v[86:87]
	v_add_f64 v[58:59], v[58:59], v[76:77]
	v_fma_f64 v[170:171], v[72:73], s[2:3], v[170:171]
	v_fma_f64 v[180:181], v[72:73], s[14:15], -v[178:179]
	v_mul_f64 v[182:183], v[102:103], s[18:19]
	v_fma_f64 v[178:179], v[72:73], s[14:15], v[178:179]
	v_fma_f64 v[188:189], v[72:73], s[24:25], -v[186:187]
	v_mul_f64 v[195:196], v[102:103], s[26:27]
	v_add_f64 v[56:57], v[56:57], v[78:79]
	v_add_f64 v[58:59], v[58:59], v[68:69]
	v_fma_f64 v[186:187], v[72:73], s[24:25], v[186:187]
	v_mul_f64 v[102:103], v[102:103], s[30:31]
	v_fma_f64 v[160:161], v[156:157], s[20:21], v[158:159]
	v_fma_f64 v[158:159], v[156:157], s[20:21], -v[158:159]
	v_add_f64 v[164:165], v[4:5], v[164:165]
	v_fma_f64 v[168:169], v[156:157], s[16:17], v[166:167]
	v_add_f64 v[56:57], v[56:57], v[60:61]
	v_add_f64 v[58:59], v[58:59], v[203:204]
	;; [unrolled: 1-line block ×3, first 2 shown]
	v_fma_f64 v[166:167], v[156:157], s[16:17], -v[166:167]
	v_add_f64 v[172:173], v[4:5], v[172:173]
	v_fma_f64 v[176:177], v[156:157], s[2:3], v[174:175]
	v_add_f64 v[170:171], v[4:5], v[170:171]
	v_fma_f64 v[174:175], v[156:157], s[2:3], -v[174:175]
	v_add_f64 v[56:57], v[56:57], v[64:65]
	v_add_f64 v[58:59], v[58:59], v[62:63]
	;; [unrolled: 1-line block ×3, first 2 shown]
	v_fma_f64 v[184:185], v[156:157], s[14:15], v[182:183]
	v_add_f64 v[178:179], v[4:5], v[178:179]
	v_fma_f64 v[182:183], v[156:157], s[14:15], -v[182:183]
	v_add_f64 v[188:189], v[4:5], v[188:189]
	v_fma_f64 v[197:198], v[156:157], s[24:25], v[195:196]
	v_add_f64 v[56:57], v[56:57], v[66:67]
	v_add_f64 v[58:59], v[58:59], v[70:71]
	;; [unrolled: 1-line block ×3, first 2 shown]
	v_fma_f64 v[195:196], v[156:157], s[24:25], -v[195:196]
	v_fma_f64 v[201:202], v[156:157], s[28:29], v[102:103]
	v_add_f64 v[160:161], v[6:7], v[160:161]
	v_add_f64 v[158:159], v[6:7], v[158:159]
	;; [unrolled: 1-line block ×19, first 2 shown]
	v_mul_f64 v[152:153], v[100:101], s[46:47]
	v_mul_f64 v[100:101], v[100:101], s[30:31]
	v_add_f64 v[56:57], v[56:57], v[154:155]
	v_fma_f64 v[154:155], v[72:73], s[20:21], -v[152:153]
	v_fma_f64 v[152:153], v[72:73], s[20:21], v[152:153]
	v_fma_f64 v[199:200], v[72:73], s[28:29], -v[100:101]
	v_fma_f64 v[72:73], v[72:73], s[28:29], v[100:101]
	v_add_f64 v[100:101], v[90:91], v[96:97]
	v_add_f64 v[90:91], v[90:91], -v[96:97]
	v_add_f64 v[154:155], v[4:5], v[154:155]
	v_add_f64 v[152:153], v[4:5], v[152:153]
	;; [unrolled: 1-line block ×4, first 2 shown]
	v_fma_f64 v[72:73], v[156:157], s[28:29], -v[102:103]
	v_mul_f64 v[96:97], v[90:91], s[34:35]
	v_add_f64 v[6:7], v[6:7], v[72:73]
	v_add_f64 v[72:73], v[92:93], v[98:99]
	v_add_f64 v[92:93], v[92:93], -v[98:99]
	v_fma_f64 v[98:99], v[72:73], s[16:17], -v[96:97]
	v_fma_f64 v[96:97], v[72:73], s[16:17], v[96:97]
	v_mul_f64 v[102:103], v[92:93], s[34:35]
	v_add_f64 v[98:99], v[98:99], v[154:155]
	v_add_f64 v[96:97], v[96:97], v[152:153]
	v_mul_f64 v[152:153], v[90:91], s[18:19]
	v_fma_f64 v[154:155], v[100:101], s[16:17], v[102:103]
	v_fma_f64 v[102:103], v[100:101], s[16:17], -v[102:103]
	v_fma_f64 v[156:157], v[72:73], s[14:15], -v[152:153]
	v_fma_f64 v[152:153], v[72:73], s[14:15], v[152:153]
	v_add_f64 v[102:103], v[102:103], v[158:159]
	v_mul_f64 v[158:159], v[92:93], s[18:19]
	v_add_f64 v[154:155], v[154:155], v[160:161]
	v_add_f64 v[156:157], v[156:157], v[164:165]
	v_add_f64 v[152:153], v[152:153], v[162:163]
	v_mul_f64 v[162:163], v[90:91], s[30:31]
	v_fma_f64 v[160:161], v[100:101], s[14:15], v[158:159]
	v_fma_f64 v[158:159], v[100:101], s[14:15], -v[158:159]
	v_fma_f64 v[164:165], v[72:73], s[28:29], -v[162:163]
	v_fma_f64 v[162:163], v[72:73], s[28:29], v[162:163]
	v_add_f64 v[158:159], v[158:159], v[166:167]
	v_mul_f64 v[166:167], v[92:93], s[30:31]
	v_add_f64 v[160:161], v[160:161], v[168:169]
	v_add_f64 v[164:165], v[164:165], v[172:173]
	v_add_f64 v[162:163], v[162:163], v[170:171]
	v_mul_f64 v[170:171], v[90:91], s[42:43]
	v_fma_f64 v[168:169], v[100:101], s[28:29], v[166:167]
	v_fma_f64 v[166:167], v[100:101], s[28:29], -v[166:167]
	v_fma_f64 v[172:173], v[72:73], s[24:25], -v[170:171]
	v_fma_f64 v[170:171], v[72:73], s[24:25], v[170:171]
	v_add_f64 v[166:167], v[166:167], v[174:175]
	v_mul_f64 v[174:175], v[92:93], s[42:43]
	v_add_f64 v[168:169], v[168:169], v[176:177]
	v_add_f64 v[172:173], v[172:173], v[180:181]
	v_add_f64 v[170:171], v[170:171], v[178:179]
	v_mul_f64 v[178:179], v[90:91], s[22:23]
	v_fma_f64 v[176:177], v[100:101], s[24:25], v[174:175]
	v_fma_f64 v[174:175], v[100:101], s[24:25], -v[174:175]
	v_mul_f64 v[90:91], v[90:91], s[36:37]
	v_fma_f64 v[180:181], v[72:73], s[2:3], -v[178:179]
	v_fma_f64 v[178:179], v[72:73], s[2:3], v[178:179]
	v_add_f64 v[174:175], v[174:175], v[182:183]
	v_mul_f64 v[182:183], v[92:93], s[22:23]
	v_mul_f64 v[92:93], v[92:93], s[36:37]
	v_add_f64 v[176:177], v[176:177], v[184:185]
	v_add_f64 v[180:181], v[180:181], v[188:189]
	v_add_f64 v[178:179], v[178:179], v[186:187]
	v_fma_f64 v[186:187], v[72:73], s[20:21], -v[90:91]
	v_fma_f64 v[72:73], v[72:73], s[20:21], v[90:91]
	v_add_f64 v[90:91], v[82:83], v[88:89]
	v_add_f64 v[82:83], v[82:83], -v[88:89]
	v_fma_f64 v[188:189], v[100:101], s[20:21], v[92:93]
	v_fma_f64 v[184:185], v[100:101], s[2:3], v[182:183]
	v_fma_f64 v[182:183], v[100:101], s[2:3], -v[182:183]
	v_add_f64 v[186:187], v[186:187], v[199:200]
	v_add_f64 v[4:5], v[72:73], v[4:5]
	v_fma_f64 v[72:73], v[100:101], s[20:21], -v[92:93]
	v_mul_f64 v[88:89], v[82:83], s[38:39]
	v_add_f64 v[188:189], v[188:189], v[201:202]
	v_add_f64 v[184:185], v[184:185], v[197:198]
	v_add_f64 v[182:183], v[182:183], v[195:196]
	v_add_f64 v[6:7], v[72:73], v[6:7]
	v_add_f64 v[72:73], v[86:87], v[94:95]
	v_add_f64 v[86:87], v[86:87], -v[94:95]
	v_fma_f64 v[92:93], v[72:73], s[2:3], -v[88:89]
	v_fma_f64 v[88:89], v[72:73], s[2:3], v[88:89]
	v_mul_f64 v[94:95], v[86:87], s[38:39]
	v_add_f64 v[92:93], v[92:93], v[98:99]
	v_add_f64 v[88:89], v[88:89], v[96:97]
	v_mul_f64 v[96:97], v[82:83], s[30:31]
	v_fma_f64 v[98:99], v[90:91], s[2:3], v[94:95]
	v_fma_f64 v[94:95], v[90:91], s[2:3], -v[94:95]
	v_fma_f64 v[100:101], v[72:73], s[28:29], -v[96:97]
	v_fma_f64 v[96:97], v[72:73], s[28:29], v[96:97]
	v_add_f64 v[94:95], v[94:95], v[102:103]
	v_mul_f64 v[102:103], v[86:87], s[30:31]
	v_add_f64 v[98:99], v[98:99], v[154:155]
	v_add_f64 v[100:101], v[100:101], v[156:157]
	v_add_f64 v[96:97], v[96:97], v[152:153]
	v_mul_f64 v[152:153], v[82:83], s[48:49]
	v_fma_f64 v[154:155], v[90:91], s[28:29], v[102:103]
	v_fma_f64 v[102:103], v[90:91], s[28:29], -v[102:103]
	v_fma_f64 v[156:157], v[72:73], s[14:15], -v[152:153]
	v_fma_f64 v[152:153], v[72:73], s[14:15], v[152:153]
	v_add_f64 v[102:103], v[102:103], v[158:159]
	v_mul_f64 v[158:159], v[86:87], s[48:49]
	v_add_f64 v[154:155], v[154:155], v[160:161]
	v_add_f64 v[156:157], v[156:157], v[164:165]
	v_add_f64 v[152:153], v[152:153], v[162:163]
	v_mul_f64 v[162:163], v[82:83], s[36:37]
	v_fma_f64 v[160:161], v[90:91], s[14:15], v[158:159]
	v_fma_f64 v[158:159], v[90:91], s[14:15], -v[158:159]
	v_fma_f64 v[164:165], v[72:73], s[20:21], -v[162:163]
	v_fma_f64 v[162:163], v[72:73], s[20:21], v[162:163]
	v_add_f64 v[158:159], v[158:159], v[166:167]
	v_mul_f64 v[166:167], v[86:87], s[36:37]
	v_add_f64 v[160:161], v[160:161], v[168:169]
	v_add_f64 v[164:165], v[164:165], v[172:173]
	v_add_f64 v[162:163], v[162:163], v[170:171]
	v_mul_f64 v[170:171], v[82:83], s[34:35]
	v_fma_f64 v[168:169], v[90:91], s[20:21], v[166:167]
	v_fma_f64 v[166:167], v[90:91], s[20:21], -v[166:167]
	v_mul_f64 v[82:83], v[82:83], s[26:27]
	v_fma_f64 v[172:173], v[72:73], s[16:17], -v[170:171]
	v_fma_f64 v[170:171], v[72:73], s[16:17], v[170:171]
	v_add_f64 v[166:167], v[166:167], v[174:175]
	v_mul_f64 v[174:175], v[86:87], s[34:35]
	v_mul_f64 v[86:87], v[86:87], s[26:27]
	v_add_f64 v[168:169], v[168:169], v[176:177]
	v_add_f64 v[172:173], v[172:173], v[180:181]
	v_add_f64 v[170:171], v[170:171], v[178:179]
	v_fma_f64 v[178:179], v[72:73], s[24:25], -v[82:83]
	v_fma_f64 v[72:73], v[72:73], s[24:25], v[82:83]
	v_add_f64 v[82:83], v[76:77], v[80:81]
	v_add_f64 v[76:77], v[76:77], -v[80:81]
	v_fma_f64 v[180:181], v[90:91], s[24:25], v[86:87]
	v_fma_f64 v[176:177], v[90:91], s[16:17], v[174:175]
	v_fma_f64 v[174:175], v[90:91], s[16:17], -v[174:175]
	v_add_f64 v[178:179], v[178:179], v[186:187]
	v_add_f64 v[4:5], v[72:73], v[4:5]
	v_fma_f64 v[72:73], v[90:91], s[24:25], -v[86:87]
	v_mul_f64 v[80:81], v[76:77], s[18:19]
	v_add_f64 v[180:181], v[180:181], v[188:189]
	v_add_f64 v[176:177], v[176:177], v[184:185]
	v_add_f64 v[174:175], v[174:175], v[182:183]
	;; [unrolled: 64-line block ×3, first 2 shown]
	v_add_f64 v[6:7], v[72:73], v[6:7]
	v_add_f64 v[72:73], v[60:61], v[74:75]
	v_add_f64 v[60:61], v[60:61], -v[74:75]
	v_fma_f64 v[74:75], v[72:73], s[24:25], -v[70:71]
	v_fma_f64 v[70:71], v[72:73], s[24:25], v[70:71]
	v_add_f64 v[78:79], v[74:75], v[84:85]
	v_mul_f64 v[74:75], v[60:61], s[26:27]
	v_add_f64 v[80:81], v[70:71], v[80:81]
	v_fma_f64 v[70:71], v[76:77], s[24:25], -v[74:75]
	v_fma_f64 v[82:83], v[76:77], s[24:25], v[74:75]
	v_add_f64 v[174:175], v[70:71], v[86:87]
	v_mul_f64 v[70:71], v[68:69], s[22:23]
	v_add_f64 v[82:83], v[82:83], v[90:91]
	;; [unrolled: 5-line block ×7, first 2 shown]
	v_fma_f64 v[70:71], v[76:77], s[28:29], -v[74:75]
	v_fma_f64 v[84:85], v[76:77], s[28:29], v[74:75]
	v_add_f64 v[158:159], v[70:71], v[158:159]
	v_mul_f64 v[70:71], v[68:69], s[36:37]
	v_mul_f64 v[68:69], v[68:69], s[18:19]
	v_add_f64 v[160:161], v[84:85], v[160:161]
	v_fma_f64 v[74:75], v[72:73], s[20:21], -v[70:71]
	v_fma_f64 v[70:71], v[72:73], s[20:21], v[70:71]
	v_add_f64 v[94:95], v[74:75], v[164:165]
	v_mul_f64 v[74:75], v[60:61], s[36:37]
	v_add_f64 v[90:91], v[70:71], v[162:163]
	v_mul_f64 v[60:61], v[60:61], s[18:19]
	v_fma_f64 v[70:71], v[76:77], s[20:21], -v[74:75]
	v_fma_f64 v[84:85], v[76:77], s[20:21], v[74:75]
	v_add_f64 v[74:75], v[64:65], v[66:67]
	v_add_f64 v[64:65], v[64:65], -v[66:67]
	v_add_f64 v[66:67], v[203:204], -v[62:63]
	v_add_f64 v[88:89], v[70:71], v[166:167]
	v_fma_f64 v[70:71], v[72:73], s[14:15], -v[68:69]
	v_fma_f64 v[68:69], v[72:73], s[14:15], v[68:69]
	v_add_f64 v[92:93], v[84:85], v[168:169]
	v_mul_f64 v[162:163], v[64:65], s[26:27]
	v_mul_f64 v[164:165], v[64:65], s[40:41]
	;; [unrolled: 1-line block ×3, first 2 shown]
	v_add_f64 v[86:87], v[70:71], v[170:171]
	v_fma_f64 v[70:71], v[76:77], s[14:15], v[60:61]
	v_add_f64 v[72:73], v[68:69], v[4:5]
	v_fma_f64 v[4:5], v[76:77], s[14:15], -v[60:61]
	v_mul_f64 v[60:61], v[66:67], s[30:31]
	v_fma_f64 v[96:97], v[74:75], s[24:25], -v[152:153]
	v_mul_f64 v[76:77], v[66:67], s[36:37]
	v_add_f64 v[84:85], v[70:71], v[172:173]
	v_add_f64 v[70:71], v[203:204], v[62:63]
	;; [unrolled: 1-line block ×3, first 2 shown]
	v_fma_f64 v[4:5], v[74:75], s[28:29], -v[60:61]
	v_mul_f64 v[62:63], v[64:65], s[30:31]
	v_fma_f64 v[60:61], v[74:75], s[28:29], v[60:61]
	v_add_f64 v[96:97], v[96:97], v[100:101]
	v_fma_f64 v[100:101], v[74:75], s[24:25], v[152:153]
	v_fma_f64 v[152:153], v[70:71], s[24:25], -v[162:163]
	v_add_f64 v[4:5], v[4:5], v[78:79]
	v_mul_f64 v[78:79], v[64:65], s[36:37]
	v_fma_f64 v[6:7], v[70:71], s[28:29], v[62:63]
	v_add_f64 v[80:81], v[60:61], v[80:81]
	v_fma_f64 v[60:61], v[70:71], s[28:29], -v[62:63]
	v_add_f64 v[100:101], v[100:101], v[182:183]
	v_add_f64 v[102:103], v[152:153], v[102:103]
	v_fma_f64 v[62:63], v[70:71], s[20:21], v[78:79]
	v_add_f64 v[6:7], v[6:7], v[82:83]
	v_fma_f64 v[78:79], v[70:71], s[20:21], -v[78:79]
	v_add_f64 v[82:83], v[60:61], v[174:175]
	v_fma_f64 v[60:61], v[74:75], s[20:21], -v[76:77]
	v_fma_f64 v[76:77], v[74:75], s[20:21], v[76:77]
	v_add_f64 v[62:63], v[62:63], v[98:99]
	v_fma_f64 v[98:99], v[70:71], s[24:25], v[162:163]
	v_mul_f64 v[162:163], v[66:67], s[40:41]
	v_add_f64 v[78:79], v[78:79], v[180:181]
	v_add_f64 v[60:61], v[60:61], v[176:177]
	;; [unrolled: 1-line block ×4, first 2 shown]
	v_fma_f64 v[154:155], v[70:71], s[16:17], v[164:165]
	v_fma_f64 v[152:153], v[74:75], s[16:17], -v[162:163]
	v_add_f64 v[154:155], v[154:155], v[160:161]
	v_fma_f64 v[160:161], v[70:71], s[16:17], -v[164:165]
	v_mul_f64 v[164:165], v[66:67], s[18:19]
	v_add_f64 v[152:153], v[152:153], v[156:157]
	v_fma_f64 v[156:157], v[74:75], s[16:17], v[162:163]
	v_mul_f64 v[66:67], v[66:67], s[22:23]
	v_add_f64 v[158:159], v[160:161], v[158:159]
	v_fma_f64 v[160:161], v[74:75], s[14:15], -v[164:165]
	v_add_f64 v[156:157], v[156:157], v[184:185]
	v_add_f64 v[160:161], v[160:161], v[94:95]
	v_mul_f64 v[94:95], v[64:65], s[18:19]
	v_fma_f64 v[162:163], v[70:71], s[14:15], v[94:95]
	v_add_f64 v[162:163], v[162:163], v[92:93]
	v_fma_f64 v[92:93], v[74:75], s[14:15], v[164:165]
	v_add_f64 v[90:91], v[92:93], v[90:91]
	v_fma_f64 v[92:93], v[70:71], s[14:15], -v[94:95]
	v_mul_f64 v[94:95], v[64:65], s[22:23]
	v_add_f64 v[92:93], v[92:93], v[88:89]
	v_fma_f64 v[88:89], v[74:75], s[2:3], -v[66:67]
	v_fma_f64 v[64:65], v[70:71], s[2:3], v[94:95]
	v_add_f64 v[86:87], v[88:89], v[86:87]
	v_add_f64 v[88:89], v[64:65], v[84:85]
	v_fma_f64 v[64:65], v[74:75], s[2:3], v[66:67]
	v_fma_f64 v[66:67], v[70:71], s[2:3], -v[94:95]
	v_add_f64 v[64:65], v[64:65], v[72:73]
	v_add_f64 v[66:67], v[66:67], v[68:69]
	v_mov_b32_e32 v68, 0x152
	v_cndmask_b32_e64 v68, 0, v68, s[0:1]
	v_add_lshl_u32 v230, v190, v68, 4
	ds_write_b128 v230, v[0:3]
	ds_write_b128 v230, v[12:15] offset:416
	ds_write_b128 v230, v[20:23] offset:832
	;; [unrolled: 1-line block ×12, first 2 shown]
	v_mul_u32_u24_e32 v0, 0x152, v191
	v_add_lshl_u32 v232, v0, v194, 4
	ds_write_b128 v232, v[56:59]
	ds_write_b128 v232, v[4:7] offset:416
	ds_write_b128 v232, v[60:63] offset:832
	;; [unrolled: 1-line block ×12, first 2 shown]
	s_waitcnt lgkmcnt(0)
	; wave barrier
	s_waitcnt lgkmcnt(0)
	ds_read_b128 v[248:251], v228
	ds_read_b128 v[24:27], v228 offset:5408
	ds_read_b128 v[20:23], v228 offset:10816
	;; [unrolled: 1-line block ×23, first 2 shown]
	s_and_saveexec_b64 s[2:3], s[0:1]
	s_xor_b64 s[0:1], exec, s[2:3]
; %bb.2:
                                        ; implicit-def: $vgpr192
; %bb.3:
	s_or_saveexec_b64 s[0:1], s[0:1]
                                        ; implicit-def: $vgpr160_vgpr161
                                        ; implicit-def: $vgpr156_vgpr157
	s_xor_b64 exec, exec, s[0:1]
	s_cbranch_execz .LBB0_5
; %bb.4:
	ds_read_b128 v[76:79], v228 offset:4992
	ds_read_b128 v[80:83], v228 offset:10400
	;; [unrolled: 1-line block ×4, first 2 shown]
	v_mov_b32_e32 v233, v192
.LBB0_5:
	s_or_b64 exec, exec, s[0:1]
	v_add_u32_e32 v4, 0x1a00, v193
	buffer_store_dword v4, off, s[52:55], 0 offset:860 ; 4-byte Folded Spill
	v_add_u32_e32 v4, 0x2080, v193
	v_mad_u64_u32 v[208:209], s[0:1], v247, 48, s[10:11]
	buffer_store_dword v4, off, s[52:55], 0 offset:856 ; 4-byte Folded Spill
	v_add_u32_e32 v4, 0x2d80, v193
	buffer_store_dword v4, off, s[52:55], 0 offset:852 ; 4-byte Folded Spill
	v_add_u32_e32 v4, 0x3400, v193
	;; [unrolled: 2-line block ×3, first 2 shown]
	s_movk_i32 s2, 0x1500
	buffer_store_dword v4, off, s[52:55], 0 offset:844 ; 4-byte Folded Spill
	v_add_u32_e32 v4, 0x4100, v193
	v_add_co_u32_e64 v12, s[0:1], s2, v208
	buffer_store_dword v4, off, s[52:55], 0 offset:840 ; 4-byte Folded Spill
	v_add_u32_e32 v4, 0x4780, v193
	v_addc_co_u32_e64 v13, s[0:1], 0, v209, s[0:1]
	s_movk_i32 s14, 0x1000
	buffer_store_dword v4, off, s[52:55], 0 offset:836 ; 4-byte Folded Spill
	v_add_u32_e32 v4, 0x4e00, v193
	v_add_co_u32_e64 v164, s[0:1], s14, v208
	buffer_store_dword v4, off, s[52:55], 0 offset:832 ; 4-byte Folded Spill
	v_addc_co_u32_e64 v165, s[0:1], 0, v209, s[0:1]
	global_load_dwordx4 v[8:11], v[164:165], off offset:1280
	global_load_dwordx4 v[4:7], v[12:13], off offset:32
	s_nop 0
	global_load_dwordx4 v[12:15], v[12:13], off offset:16
	s_movk_i32 s0, 0x1ec0
	s_movk_i32 s16, 0x2000
	v_add_u32_e32 v246, 0xd00, v193
	v_add_u32_e32 v245, 0x1380, v193
	s_movk_i32 s17, 0x3000
	s_movk_i32 s15, 0x4000
	s_waitcnt vmcnt(2) lgkmcnt(14)
	v_mul_f64 v[166:167], v[26:27], v[10:11]
	v_fma_f64 v[166:167], v[24:25], v[8:9], -v[166:167]
	v_mul_f64 v[24:25], v[24:25], v[10:11]
	v_fma_f64 v[170:171], v[26:27], v[8:9], v[24:25]
	s_waitcnt vmcnt(0)
	v_mul_f64 v[24:25], v[22:23], v[14:15]
	v_fma_f64 v[186:187], v[20:21], v[12:13], -v[24:25]
	v_mul_f64 v[20:21], v[20:21], v[14:15]
	v_add_f64 v[186:187], v[248:249], -v[186:187]
	v_fma_f64 v[190:191], v[22:23], v[12:13], v[20:21]
	v_mul_f64 v[20:21], v[18:19], v[6:7]
	v_add_f64 v[190:191], v[250:251], -v[190:191]
	v_fma_f64 v[174:175], v[16:17], v[4:5], -v[20:21]
	v_mul_f64 v[16:17], v[16:17], v[6:7]
	v_add_co_u32_e64 v20, s[0:1], s0, v208
	v_addc_co_u32_e64 v21, s[0:1], 0, v209, s[0:1]
	s_movk_i32 s0, 0x2880
	v_add_f64 v[174:175], v[166:167], -v[174:175]
	v_fma_f64 v[180:181], v[18:19], v[4:5], v[16:17]
	global_load_dwordx4 v[24:27], v[164:165], off offset:3776
	global_load_dwordx4 v[16:19], v[20:21], off offset:32
	s_nop 0
	global_load_dwordx4 v[20:23], v[20:21], off offset:16
	v_add_f64 v[180:181], v[170:171], -v[180:181]
	s_waitcnt vmcnt(2)
	v_mul_f64 v[164:165], v[38:39], v[26:27]
	v_fma_f64 v[164:165], v[36:37], v[24:25], -v[164:165]
	v_mul_f64 v[36:37], v[36:37], v[26:27]
	v_fma_f64 v[168:169], v[38:39], v[24:25], v[36:37]
	s_waitcnt vmcnt(0)
	v_mul_f64 v[36:37], v[34:35], v[22:23]
	v_fma_f64 v[184:185], v[32:33], v[20:21], -v[36:37]
	v_mul_f64 v[32:33], v[32:33], v[22:23]
	v_fma_f64 v[188:189], v[34:35], v[20:21], v[32:33]
	v_mul_f64 v[32:33], v[30:31], v[18:19]
	v_fma_f64 v[172:173], v[28:29], v[16:17], -v[32:33]
	v_mul_f64 v[28:29], v[28:29], v[18:19]
	v_add_co_u32_e64 v32, s[0:1], s0, v208
	v_addc_co_u32_e64 v33, s[0:1], 0, v209, s[0:1]
	v_add_f64 v[172:173], v[164:165], -v[172:173]
	v_fma_f64 v[176:177], v[30:31], v[16:17], v[28:29]
	v_add_co_u32_e64 v28, s[0:1], s16, v208
	v_addc_co_u32_e64 v29, s[0:1], 0, v209, s[0:1]
	global_load_dwordx4 v[36:39], v[28:29], off offset:2176
	s_nop 0
	global_load_dwordx4 v[28:31], v[32:33], off offset:32
	s_nop 0
	global_load_dwordx4 v[32:35], v[32:33], off offset:16
	s_movk_i32 s0, 0x3240
	v_add_f64 v[176:177], v[168:169], -v[176:177]
	s_waitcnt vmcnt(2)
	v_mul_f64 v[178:179], v[50:51], v[38:39]
	v_fma_f64 v[178:179], v[48:49], v[36:37], -v[178:179]
	v_mul_f64 v[48:49], v[48:49], v[38:39]
	v_fma_f64 v[182:183], v[50:51], v[36:37], v[48:49]
	s_waitcnt vmcnt(0) lgkmcnt(13)
	v_mul_f64 v[48:49], v[46:47], v[34:35]
	v_fma_f64 v[196:197], v[44:45], v[32:33], -v[48:49]
	v_mul_f64 v[44:45], v[44:45], v[34:35]
	v_fma_f64 v[198:199], v[46:47], v[32:33], v[44:45]
	s_waitcnt lgkmcnt(12)
	v_mul_f64 v[44:45], v[42:43], v[30:31]
	v_fma_f64 v[192:193], v[40:41], v[28:29], -v[44:45]
	v_mul_f64 v[40:41], v[40:41], v[30:31]
	v_add_co_u32_e64 v44, s[0:1], s0, v208
	v_addc_co_u32_e64 v45, s[0:1], 0, v209, s[0:1]
	v_add_co_u32_e64 v204, s[0:1], s17, v208
	v_addc_co_u32_e64 v205, s[0:1], 0, v209, s[0:1]
	v_fma_f64 v[194:195], v[42:43], v[28:29], v[40:41]
	global_load_dwordx4 v[48:51], v[204:205], off offset:576
	global_load_dwordx4 v[40:43], v[44:45], off offset:32
	s_nop 0
	global_load_dwordx4 v[44:47], v[44:45], off offset:16
	s_movk_i32 s0, 0x3c00
	s_waitcnt vmcnt(2) lgkmcnt(10)
	v_mul_f64 v[200:201], v[62:63], v[50:51]
	v_fma_f64 v[200:201], v[60:61], v[48:49], -v[200:201]
	v_mul_f64 v[60:61], v[60:61], v[50:51]
	v_fma_f64 v[202:203], v[62:63], v[48:49], v[60:61]
	s_waitcnt vmcnt(0) lgkmcnt(9)
	v_mul_f64 v[60:61], v[58:59], v[46:47]
	v_fma_f64 v[214:215], v[56:57], v[44:45], -v[60:61]
	v_mul_f64 v[56:57], v[56:57], v[46:47]
	v_fma_f64 v[216:217], v[58:59], v[44:45], v[56:57]
	s_waitcnt lgkmcnt(8)
	v_mul_f64 v[56:57], v[54:55], v[42:43]
	v_fma_f64 v[210:211], v[52:53], v[40:41], -v[56:57]
	v_mul_f64 v[52:53], v[52:53], v[42:43]
	v_add_co_u32_e64 v56, s[0:1], s0, v208
	v_addc_co_u32_e64 v57, s[0:1], 0, v209, s[0:1]
	s_movk_i32 s0, 0x45c0
	v_fma_f64 v[212:213], v[54:55], v[40:41], v[52:53]
	global_load_dwordx4 v[60:63], v[204:205], off offset:3072
	global_load_dwordx4 v[52:55], v[56:57], off offset:32
	s_nop 0
	global_load_dwordx4 v[56:59], v[56:57], off offset:16
	s_waitcnt vmcnt(2) lgkmcnt(6)
	v_mul_f64 v[204:205], v[74:75], v[62:63]
	v_fma_f64 v[204:205], v[72:73], v[60:61], -v[204:205]
	v_mul_f64 v[72:73], v[72:73], v[62:63]
	v_fma_f64 v[206:207], v[74:75], v[60:61], v[72:73]
	s_waitcnt vmcnt(0) lgkmcnt(5)
	v_mul_f64 v[72:73], v[70:71], v[58:59]
	v_fma_f64 v[222:223], v[68:69], v[56:57], -v[72:73]
	v_mul_f64 v[68:69], v[68:69], v[58:59]
	v_fma_f64 v[224:225], v[70:71], v[56:57], v[68:69]
	s_waitcnt lgkmcnt(4)
	v_mul_f64 v[68:69], v[66:67], v[54:55]
	v_fma_f64 v[218:219], v[64:65], v[52:53], -v[68:69]
	v_mul_f64 v[64:65], v[64:65], v[54:55]
	v_add_co_u32_e64 v68, s[0:1], s0, v208
	v_addc_co_u32_e64 v69, s[0:1], 0, v209, s[0:1]
	v_fma_f64 v[220:221], v[66:67], v[52:53], v[64:65]
	v_add_co_u32_e64 v64, s[0:1], s15, v208
	v_addc_co_u32_e64 v65, s[0:1], 0, v209, s[0:1]
	global_load_dwordx4 v[72:75], v[64:65], off offset:1472
	s_nop 0
	global_load_dwordx4 v[64:67], v[68:69], off offset:32
	s_nop 0
	global_load_dwordx4 v[68:71], v[68:69], off offset:16
	s_waitcnt vmcnt(2) lgkmcnt(2)
	v_mul_f64 v[208:209], v[154:155], v[74:75]
	v_fma_f64 v[208:209], v[152:153], v[72:73], -v[208:209]
	v_mul_f64 v[152:153], v[152:153], v[74:75]
	v_fma_f64 v[152:153], v[154:155], v[72:73], v[152:153]
	s_waitcnt vmcnt(0) lgkmcnt(1)
	v_mul_f64 v[154:155], v[254:255], v[70:71]
	v_fma_f64 v[226:227], v[252:253], v[68:69], -v[154:155]
	v_mul_f64 v[154:155], v[252:253], v[70:71]
	v_fma_f64 v[252:253], v[254:255], v[68:69], v[154:155]
	s_waitcnt lgkmcnt(0)
	v_mul_f64 v[154:155], v[2:3], v[66:67]
	v_fma_f64 v[154:155], v[0:1], v[64:65], -v[154:155]
	v_mul_f64 v[0:1], v[0:1], v[66:67]
	v_fma_f64 v[0:1], v[2:3], v[64:65], v[0:1]
	v_mul_i32_i24_e32 v3, 48, v233
	v_mul_hi_i32_i24_e32 v2, 48, v233
	v_add_co_u32_e64 v233, s[0:1], s10, v3
	v_mov_b32_e32 v3, s11
	v_addc_co_u32_e64 v234, s[0:1], v3, v2, s[0:1]
	v_add_co_u32_e64 v2, s[0:1], s2, v233
	v_addc_co_u32_e64 v3, s[0:1], 0, v234, s[0:1]
	v_add_co_u32_e64 v233, s[0:1], s14, v233
	v_addc_co_u32_e64 v234, s[0:1], 0, v234, s[0:1]
	global_load_dwordx4 v[237:240], v[233:234], off offset:1280
	s_nop 0
	global_load_dwordx4 v[233:236], v[2:3], off offset:32
	global_load_dwordx4 v[241:244], v[2:3], off offset:16
	v_add_f64 v[0:1], v[152:153], -v[0:1]
	s_waitcnt vmcnt(2)
	v_mul_f64 v[2:3], v[82:83], v[239:240]
	v_fma_f64 v[2:3], v[80:81], v[237:238], -v[2:3]
	v_mul_f64 v[80:81], v[80:81], v[239:240]
	buffer_store_dword v237, off, s[52:55], 0 offset:880 ; 4-byte Folded Spill
	s_nop 0
	buffer_store_dword v238, off, s[52:55], 0 offset:884 ; 4-byte Folded Spill
	buffer_store_dword v239, off, s[52:55], 0 offset:888 ; 4-byte Folded Spill
	;; [unrolled: 1-line block ×3, first 2 shown]
	v_fma_f64 v[80:81], v[82:83], v[237:238], v[80:81]
	s_waitcnt vmcnt(4)
	v_mul_f64 v[82:83], v[158:159], v[243:244]
	v_fma_f64 v[254:255], v[156:157], v[241:242], -v[82:83]
	v_mul_f64 v[82:83], v[156:157], v[243:244]
	buffer_store_dword v241, off, s[52:55], 0 offset:896 ; 4-byte Folded Spill
	s_nop 0
	buffer_store_dword v242, off, s[52:55], 0 offset:900 ; 4-byte Folded Spill
	buffer_store_dword v243, off, s[52:55], 0 offset:904 ; 4-byte Folded Spill
	;; [unrolled: 1-line block ×3, first 2 shown]
	v_mul_f64 v[156:157], v[160:161], v[235:236]
	v_fma_f64 v[158:159], v[158:159], v[241:242], v[82:83]
	v_mul_f64 v[82:83], v[162:163], v[235:236]
	v_fma_f64 v[82:83], v[160:161], v[233:234], -v[82:83]
	buffer_store_dword v233, off, s[52:55], 0 offset:864 ; 4-byte Folded Spill
	s_nop 0
	buffer_store_dword v234, off, s[52:55], 0 offset:868 ; 4-byte Folded Spill
	buffer_store_dword v235, off, s[52:55], 0 offset:872 ; 4-byte Folded Spill
	;; [unrolled: 1-line block ×3, first 2 shown]
	v_fma_f64 v[235:236], v[250:251], 2.0, -v[190:191]
	v_fma_f64 v[160:161], v[166:167], 2.0, -v[174:175]
	v_add_f64 v[82:83], v[2:3], -v[82:83]
	v_fma_f64 v[2:3], v[2:3], 2.0, -v[82:83]
	v_fma_f64 v[156:157], v[162:163], v[233:234], v[156:157]
	v_fma_f64 v[233:234], v[248:249], 2.0, -v[186:187]
	v_fma_f64 v[162:163], v[170:171], 2.0, -v[180:181]
	v_add_f64 v[160:161], v[233:234], -v[160:161]
	v_add_f64 v[162:163], v[235:236], -v[162:163]
	v_fma_f64 v[248:249], v[233:234], 2.0, -v[160:161]
	v_fma_f64 v[250:251], v[235:236], 2.0, -v[162:163]
	v_add_f64 v[233:234], v[186:187], -v[180:181]
	v_add_f64 v[235:236], v[190:191], v[174:175]
	v_add_f64 v[174:175], v[100:101], -v[184:185]
	v_add_f64 v[180:181], v[102:103], -v[188:189]
	;; [unrolled: 1-line block ×6, first 2 shown]
	v_fma_f64 v[237:238], v[186:187], 2.0, -v[233:234]
	v_fma_f64 v[239:240], v[190:191], 2.0, -v[235:236]
	;; [unrolled: 1-line block ×6, first 2 shown]
	v_add_f64 v[168:169], v[174:175], -v[176:177]
	v_add_f64 v[186:187], v[98:99], -v[198:199]
	;; [unrolled: 1-line block ×11, first 2 shown]
	v_fma_f64 v[176:177], v[96:97], 2.0, -v[184:185]
	v_fma_f64 v[96:97], v[178:179], 2.0, -v[188:189]
	;; [unrolled: 1-line block ×5, first 2 shown]
	v_add_f64 v[170:171], v[180:181], v[172:173]
	v_fma_f64 v[172:173], v[174:175], 2.0, -v[168:169]
	v_fma_f64 v[90:91], v[90:91], 2.0, -v[216:217]
	v_add_f64 v[224:225], v[208:209], -v[154:155]
	v_add_f64 v[96:97], v[176:177], -v[96:97]
	v_fma_f64 v[174:175], v[180:181], 2.0, -v[170:171]
	v_fma_f64 v[180:181], v[98:99], 2.0, -v[186:187]
	;; [unrolled: 1-line block ×3, first 2 shown]
	v_add_f64 v[182:183], v[186:187], v[188:189]
	v_fma_f64 v[188:189], v[92:93], 2.0, -v[196:197]
	v_fma_f64 v[92:93], v[200:201], 2.0, -v[194:195]
	;; [unrolled: 1-line block ×5, first 2 shown]
	v_add_f64 v[194:195], v[198:199], v[194:195]
	v_add_f64 v[98:99], v[180:181], -v[98:99]
	v_add_f64 v[212:213], v[216:217], v[212:213]
	v_fma_f64 v[176:177], v[176:177], 2.0, -v[96:97]
	v_add_f64 v[92:93], v[188:189], -v[92:93]
	v_add_f64 v[200:201], v[88:89], -v[200:201]
	v_fma_f64 v[186:187], v[186:187], 2.0, -v[182:183]
	v_fma_f64 v[178:179], v[180:181], 2.0, -v[98:99]
	v_add_f64 v[180:181], v[184:185], -v[190:191]
	v_fma_f64 v[190:191], v[94:95], 2.0, -v[198:199]
	v_fma_f64 v[94:95], v[202:203], 2.0, -v[192:193]
	v_fma_f64 v[202:203], v[206:207], 2.0, -v[210:211]
	v_fma_f64 v[204:205], v[88:89], 2.0, -v[200:201]
	v_add_f64 v[88:89], v[84:85], -v[226:227]
	v_add_f64 v[192:193], v[196:197], -v[192:193]
	;; [unrolled: 1-line block ×3, first 2 shown]
	v_fma_f64 v[184:185], v[184:185], 2.0, -v[180:181]
	v_fma_f64 v[188:189], v[188:189], 2.0, -v[92:93]
	v_add_f64 v[94:95], v[190:191], -v[94:95]
	v_add_f64 v[202:203], v[90:91], -v[202:203]
	v_fma_f64 v[198:199], v[198:199], 2.0, -v[194:195]
	v_fma_f64 v[84:85], v[84:85], 2.0, -v[88:89]
	v_add_f64 v[222:223], v[88:89], -v[0:1]
	v_fma_f64 v[196:197], v[196:197], 2.0, -v[192:193]
	v_fma_f64 v[214:215], v[214:215], 2.0, -v[210:211]
	v_fma_f64 v[216:217], v[216:217], 2.0, -v[212:213]
	v_fma_f64 v[190:191], v[190:191], 2.0, -v[94:95]
	v_fma_f64 v[206:207], v[90:91], 2.0, -v[202:203]
	v_add_f64 v[90:91], v[86:87], -v[252:253]
	v_add_f64 v[152:153], v[84:85], -v[154:155]
	v_fma_f64 v[241:242], v[88:89], 2.0, -v[222:223]
	v_add_f64 v[88:89], v[78:79], -v[158:159]
	v_fma_f64 v[86:87], v[86:87], 2.0, -v[90:91]
	v_add_f64 v[224:225], v[90:91], v[224:225]
	v_fma_f64 v[218:219], v[84:85], 2.0, -v[152:153]
	v_fma_f64 v[84:85], v[78:79], 2.0, -v[88:89]
	v_add_f64 v[82:83], v[88:89], v[82:83]
	v_add_f64 v[154:155], v[86:87], -v[208:209]
	v_fma_f64 v[243:244], v[90:91], 2.0, -v[224:225]
	v_add_f64 v[90:91], v[80:81], -v[156:157]
	v_fma_f64 v[220:221], v[86:87], 2.0, -v[154:155]
	;; [unrolled: 2-line block ×3, first 2 shown]
	ds_write_b128 v228, v[248:251]
	ds_write_b128 v228, v[237:240] offset:5408
	ds_write_b128 v228, v[160:163] offset:10816
	;; [unrolled: 1-line block ×23, first 2 shown]
	v_fma_f64 v[0:1], v[76:77], 2.0, -v[86:87]
	v_add_f64 v[78:79], v[84:85], -v[78:79]
	v_add_f64 v[80:81], v[86:87], -v[90:91]
	;; [unrolled: 1-line block ×3, first 2 shown]
	s_and_saveexec_b64 s[0:1], vcc
	s_cbranch_execz .LBB0_7
; %bb.6:
	v_fma_f64 v[2:3], v[84:85], 2.0, -v[78:79]
	v_fma_f64 v[0:1], v[0:1], 2.0, -v[76:77]
	;; [unrolled: 1-line block ×4, first 2 shown]
	ds_write_b128 v228, v[0:3] offset:4992
	ds_write_b128 v228, v[86:89] offset:10400
	ds_write_b128 v228, v[76:79] offset:15808
	ds_write_b128 v228, v[80:83] offset:21216
.LBB0_7:
	s_or_b64 exec, exec, s[0:1]
	s_add_u32 s2, s8, 0x5480
	s_addc_u32 s3, s9, 0
	s_waitcnt lgkmcnt(0)
	; wave barrier
	s_waitcnt lgkmcnt(0)
	buffer_store_dword v247, off, s[52:55], 0 offset:380 ; 4-byte Folded Spill
	v_lshlrev_b32_e32 v0, 4, v247
	global_load_dwordx4 v[84:87], v0, s[2:3]
	global_load_dwordx4 v[88:91], v0, s[2:3] offset:832
	global_load_dwordx4 v[92:95], v0, s[2:3] offset:1664
	;; [unrolled: 1-line block ×3, first 2 shown]
	buffer_load_dword v1, off, s[52:55], 0 offset:432 ; 4-byte Folded Reload
	v_add_co_u32_e64 v164, s[0:1], s2, v0
	s_mov_b32 s24, 0x4267c47c
	s_mov_b32 s25, 0xbfddbe06
	;; [unrolled: 1-line block ×27, first 2 shown]
	global_load_dwordx4 v[248:251], v0, s[2:3] offset:3328
	s_waitcnt vmcnt(1)
	global_load_dwordx4 v[100:103], v1, s[2:3]
	v_mov_b32_e32 v1, s3
	v_add_co_u32_e64 v0, s[2:3], s16, v164
	v_addc_co_u32_e64 v165, s[0:1], 0, v1, s[0:1]
	v_addc_co_u32_e64 v1, s[0:1], 0, v165, s[2:3]
	global_load_dwordx4 v[160:163], v[0:1], off offset:2624
	global_load_dwordx4 v[156:159], v[0:1], off offset:3456
	v_add_co_u32_e64 v2, s[0:1], s17, v164
	v_addc_co_u32_e64 v3, s[0:1], 0, v165, s[0:1]
	global_load_dwordx4 v[152:155], v[2:3], off offset:192
	global_load_dwordx4 v[166:169], v[2:3], off offset:1856
	v_add_co_u32_e64 v206, s[0:1], s14, v164
	v_addc_co_u32_e64 v207, s[0:1], 0, v165, s[0:1]
	global_load_dwordx4 v[170:173], v[206:207], off offset:64
	ds_read_b128 v[174:177], v228
	ds_read_b128 v[178:181], v228 offset:832
	ds_read_b128 v[182:185], v228 offset:1664
	;; [unrolled: 1-line block ×3, first 2 shown]
	global_load_dwordx4 v[190:193], v[2:3], off offset:2688
	v_add_co_u32_e64 v210, s[0:1], s15, v164
	s_waitcnt lgkmcnt(3)
	v_mul_f64 v[194:195], v[176:177], v[86:87]
	s_waitcnt lgkmcnt(2)
	v_mul_f64 v[196:197], v[180:181], v[90:91]
	v_mul_f64 v[86:87], v[174:175], v[86:87]
	;; [unrolled: 1-line block ×3, first 2 shown]
	v_addc_co_u32_e64 v211, s[0:1], 0, v165, s[0:1]
	s_movk_i32 s0, 0x5000
	v_add_co_u32_e64 v164, s[0:1], s0, v164
	v_fma_f64 v[174:175], v[174:175], v[84:85], -v[194:195]
	s_waitcnt lgkmcnt(1)
	v_mul_f64 v[194:195], v[184:185], v[94:95]
	v_fma_f64 v[178:179], v[178:179], v[88:89], -v[196:197]
	s_waitcnt lgkmcnt(0)
	v_mul_f64 v[196:197], v[188:189], v[98:99]
	v_mul_f64 v[98:99], v[186:187], v[98:99]
	v_fma_f64 v[176:177], v[176:177], v[84:85], v[86:87]
	v_mul_f64 v[94:95], v[182:183], v[94:95]
	ds_read_b128 v[84:87], v228 offset:13312
	v_fma_f64 v[180:181], v[180:181], v[88:89], v[90:91]
	ds_read_b128 v[88:91], v228 offset:3328
	v_fma_f64 v[182:183], v[182:183], v[92:93], -v[194:195]
	v_fma_f64 v[186:187], v[186:187], v[96:97], -v[196:197]
	v_fma_f64 v[188:189], v[188:189], v[96:97], v[98:99]
	ds_read_b128 v[96:99], v228 offset:10816
	v_fma_f64 v[184:185], v[184:185], v[92:93], v[94:95]
	global_load_dwordx4 v[92:95], v[206:207], off offset:896
	v_addc_co_u32_e64 v165, s[0:1], 0, v165, s[0:1]
	s_mov_b32 s16, 0xe00740e9
	s_mov_b32 s14, 0x1ea71119
	;; [unrolled: 1-line block ×9, first 2 shown]
	s_waitcnt vmcnt(8) lgkmcnt(1)
	v_mul_f64 v[196:197], v[90:91], v[250:251]
	v_mul_f64 v[198:199], v[88:89], v[250:251]
	v_fma_f64 v[88:89], v[88:89], v[248:249], -v[196:197]
	v_fma_f64 v[90:91], v[90:91], v[248:249], v[198:199]
	global_load_dwordx4 v[198:201], v[2:3], off offset:3520
	s_waitcnt vmcnt(8)
	v_mul_f64 v[194:195], v[86:87], v[102:103]
	v_mul_f64 v[102:103], v[84:85], v[102:103]
	s_waitcnt vmcnt(7) lgkmcnt(0)
	v_mul_f64 v[202:203], v[98:99], v[162:163]
	v_fma_f64 v[84:85], v[84:85], v[100:101], -v[194:195]
	ds_read_b128 v[194:197], v228 offset:12480
	v_mul_f64 v[162:163], v[96:97], v[162:163]
	v_fma_f64 v[86:87], v[86:87], v[100:101], v[102:103]
	ds_read_b128 v[100:103], v228 offset:11648
	v_fma_f64 v[96:97], v[96:97], v[160:161], -v[202:203]
	s_waitcnt vmcnt(5) lgkmcnt(1)
	v_mul_f64 v[202:203], v[194:195], v[154:155]
	v_fma_f64 v[98:99], v[98:99], v[160:161], v[162:163]
	v_mul_f64 v[162:163], v[196:197], v[154:155]
	v_fma_f64 v[196:197], v[196:197], v[152:153], v[202:203]
	ds_read_b128 v[202:205], v228 offset:4160
	s_waitcnt lgkmcnt(1)
	v_mul_f64 v[2:3], v[102:103], v[158:159]
	v_mul_f64 v[158:159], v[100:101], v[158:159]
	v_fma_f64 v[194:195], v[194:195], v[152:153], -v[162:163]
	v_fma_f64 v[100:101], v[100:101], v[156:157], -v[2:3]
	v_fma_f64 v[102:103], v[102:103], v[156:157], v[158:159]
	ds_read_b128 v[154:157], v228 offset:14144
	global_load_dwordx4 v[158:161], v[206:207], off offset:1728
	s_waitcnt vmcnt(5) lgkmcnt(0)
	v_mul_f64 v[2:3], v[156:157], v[168:169]
	v_mul_f64 v[162:163], v[154:155], v[168:169]
	v_fma_f64 v[152:153], v[154:155], v[166:167], -v[2:3]
	v_fma_f64 v[154:155], v[156:157], v[166:167], v[162:163]
	global_load_dwordx4 v[166:169], v[210:211], off offset:256
	s_waitcnt vmcnt(5)
	v_mul_f64 v[2:3], v[204:205], v[172:173]
	v_mul_f64 v[156:157], v[202:203], v[172:173]
	v_fma_f64 v[202:203], v[202:203], v[170:171], -v[2:3]
	v_fma_f64 v[204:205], v[204:205], v[170:171], v[156:157]
	ds_read_b128 v[170:173], v228 offset:14976
	s_waitcnt vmcnt(4) lgkmcnt(0)
	v_mul_f64 v[2:3], v[172:173], v[192:193]
	v_mul_f64 v[156:157], v[170:171], v[192:193]
	v_fma_f64 v[170:171], v[170:171], v[190:191], -v[2:3]
	v_fma_f64 v[172:173], v[172:173], v[190:191], v[156:157]
	ds_read_b128 v[190:193], v228 offset:4992
	s_waitcnt vmcnt(3) lgkmcnt(0)
	;; [unrolled: 6-line block ×4, first 2 shown]
	v_mul_f64 v[2:3], v[200:201], v[160:161]
	v_mul_f64 v[160:161], v[198:199], v[160:161]
	v_fma_f64 v[156:157], v[198:199], v[158:159], -v[2:3]
	v_fma_f64 v[158:159], v[200:201], v[158:159], v[160:161]
	ds_read_b128 v[160:163], v228 offset:16640
	ds_read_b128 v[198:201], v228 offset:6656
	s_waitcnt vmcnt(0) lgkmcnt(1)
	v_mul_f64 v[2:3], v[162:163], v[168:169]
	v_mul_f64 v[168:169], v[160:161], v[168:169]
	v_fma_f64 v[160:161], v[160:161], v[166:167], -v[2:3]
	v_fma_f64 v[162:163], v[162:163], v[166:167], v[168:169]
	global_load_dwordx4 v[166:169], v[206:207], off offset:2560
	s_waitcnt vmcnt(0) lgkmcnt(0)
	v_mul_f64 v[2:3], v[200:201], v[168:169]
	v_mul_f64 v[168:169], v[198:199], v[168:169]
	v_fma_f64 v[198:199], v[198:199], v[166:167], -v[2:3]
	v_fma_f64 v[200:201], v[200:201], v[166:167], v[168:169]
	global_load_dwordx4 v[166:169], v[210:211], off offset:1088
	s_nop 0
	global_load_dwordx4 v[206:209], v[206:207], off offset:3392
	ds_write_b128 v228, v[174:177]
	global_load_dwordx4 v[174:177], v[210:211], off offset:1920
	ds_write_b128 v228, v[96:99] offset:10816
	global_load_dwordx4 v[96:99], v[0:1], off offset:128
	ds_write_b128 v228, v[178:181] offset:832
	;; [unrolled: 2-line block ×4, first 2 shown]
	ds_write_b128 v228, v[194:197] offset:12480
	global_load_dwordx4 v[0:3], v[0:1], off offset:960
	s_nop 0
	global_load_dwordx4 v[182:185], v[210:211], off offset:3584
	global_load_dwordx4 v[194:197], v[164:165], off offset:320
	ds_write_b128 v228, v[186:189] offset:2496
	ds_read_b128 v[186:189], v228 offset:17472
	ds_write_b128 v228, v[84:87] offset:13312
	ds_write_b128 v228, v[88:91] offset:3328
	ds_read_b128 v[84:87], v228 offset:9984
	ds_read_b128 v[88:91], v228 offset:7488
	ds_write_b128 v228, v[152:155] offset:14144
	s_waitcnt vmcnt(8) lgkmcnt(5)
	v_mul_f64 v[164:165], v[188:189], v[168:169]
	v_mul_f64 v[168:169], v[186:187], v[168:169]
	v_fma_f64 v[152:153], v[186:187], v[166:167], -v[164:165]
	v_fma_f64 v[154:155], v[188:189], v[166:167], v[168:169]
	ds_write_b128 v228, v[202:205] offset:4160
	ds_write_b128 v228, v[170:173] offset:14976
	;; [unrolled: 1-line block ×8, first 2 shown]
	ds_read_b128 v[92:95], v228 offset:18304
	ds_read_b128 v[152:155], v228 offset:8320
	;; [unrolled: 1-line block ×3, first 2 shown]
	s_waitcnt vmcnt(7) lgkmcnt(12)
	v_mul_f64 v[164:165], v[90:91], v[208:209]
	v_mul_f64 v[166:167], v[88:89], v[208:209]
	ds_read_b128 v[160:163], v228 offset:9152
	s_waitcnt vmcnt(6) lgkmcnt(3)
	v_mul_f64 v[168:169], v[94:95], v[176:177]
	v_mul_f64 v[170:171], v[92:93], v[176:177]
	s_waitcnt vmcnt(5) lgkmcnt(2)
	v_mul_f64 v[172:173], v[154:155], v[98:99]
	v_mul_f64 v[98:99], v[152:153], v[98:99]
	;; [unrolled: 3-line block ×3, first 2 shown]
	v_fma_f64 v[88:89], v[88:89], v[206:207], -v[164:165]
	v_fma_f64 v[90:91], v[90:91], v[206:207], v[166:167]
	ds_read_b128 v[164:167], v228 offset:19968
	v_fma_f64 v[92:93], v[92:93], v[174:175], -v[168:169]
	v_fma_f64 v[152:153], v[152:153], v[96:97], -v[172:173]
	v_fma_f64 v[154:155], v[154:155], v[96:97], v[98:99]
	v_fma_f64 v[96:97], v[156:157], v[178:179], -v[176:177]
	v_fma_f64 v[98:99], v[158:159], v[178:179], v[180:181]
	ds_read_b128 v[156:159], v228 offset:20800
	s_waitcnt vmcnt(2) lgkmcnt(2)
	v_mul_f64 v[168:169], v[162:163], v[2:3]
	v_mul_f64 v[2:3], v[160:161], v[2:3]
	v_fma_f64 v[94:95], v[94:95], v[174:175], v[170:171]
	s_waitcnt vmcnt(1) lgkmcnt(1)
	v_mul_f64 v[170:171], v[166:167], v[184:185]
	v_mul_f64 v[172:173], v[164:165], v[184:185]
	;; [unrolled: 1-line block ×4, first 2 shown]
	s_waitcnt vmcnt(0) lgkmcnt(0)
	v_mul_f64 v[176:177], v[158:159], v[196:197]
	v_mul_f64 v[178:179], v[156:157], v[196:197]
	v_fma_f64 v[160:161], v[160:161], v[0:1], -v[168:169]
	v_fma_f64 v[162:163], v[162:163], v[0:1], v[2:3]
	v_fma_f64 v[0:1], v[164:165], v[182:183], -v[170:171]
	v_fma_f64 v[2:3], v[166:167], v[182:183], v[172:173]
	v_fma_f64 v[84:85], v[84:85], v[100:101], -v[174:175]
	v_fma_f64 v[86:87], v[86:87], v[100:101], v[102:103]
	v_fma_f64 v[100:101], v[156:157], v[194:195], -v[176:177]
	v_fma_f64 v[102:103], v[158:159], v[194:195], v[178:179]
	ds_write_b128 v228, v[88:91] offset:7488
	ds_write_b128 v228, v[92:95] offset:18304
	ds_write_b128 v228, v[152:155] offset:8320
	ds_write_b128 v228, v[96:99] offset:19136
	ds_write_b128 v228, v[160:163] offset:9152
	ds_write_b128 v228, v[0:3] offset:19968
	ds_write_b128 v228, v[84:87] offset:9984
	ds_write_b128 v228, v[100:103] offset:20800
	s_waitcnt lgkmcnt(0)
	; wave barrier
	s_waitcnt lgkmcnt(0)
	ds_read_b128 v[0:3], v228 offset:10816
	ds_read_b128 v[84:87], v228
	ds_read_b128 v[88:91], v228 offset:832
	ds_read_b128 v[92:95], v228 offset:11648
	;; [unrolled: 1-line block ×24, first 2 shown]
	s_waitcnt lgkmcnt(0)
	; wave barrier
	s_waitcnt lgkmcnt(0)
	buffer_load_dword v237, off, s[52:55], 0 offset:444 ; 4-byte Folded Reload
	v_add_f64 v[0:1], v[84:85], -v[0:1]
	v_add_f64 v[2:3], v[86:87], -v[2:3]
	v_fma_f64 v[84:85], v[84:85], 2.0, -v[0:1]
	v_fma_f64 v[86:87], v[86:87], 2.0, -v[2:3]
	s_waitcnt vmcnt(0)
	ds_write_b128 v237, v[84:87]
	ds_write_b128 v237, v[0:3] offset:16
	v_add_f64 v[0:1], v[88:89], -v[92:93]
	v_add_f64 v[2:3], v[90:91], -v[94:95]
	v_fma_f64 v[84:85], v[88:89], 2.0, -v[0:1]
	buffer_load_dword v88, off, s[52:55], 0 offset:440 ; 4-byte Folded Reload
	v_fma_f64 v[86:87], v[90:91], 2.0, -v[2:3]
	v_add_f64 v[90:91], v[166:167], -v[162:163]
	v_add_f64 v[162:163], v[190:191], -v[194:195]
	;; [unrolled: 1-line block ×3, first 2 shown]
	s_waitcnt vmcnt(0)
	ds_write_b128 v88, v[84:87]
	ds_write_b128 v88, v[0:3] offset:16
	v_add_f64 v[0:1], v[100:101], -v[96:97]
	v_add_f64 v[2:3], v[102:103], -v[98:99]
	;; [unrolled: 1-line block ×8, first 2 shown]
	v_fma_f64 v[92:93], v[100:101], 2.0, -v[0:1]
	v_fma_f64 v[94:95], v[102:103], 2.0, -v[2:3]
	;; [unrolled: 1-line block ×4, first 2 shown]
	ds_write_b128 v246, v[92:95]
	ds_write_b128 v246, v[0:3] offset:16
	ds_write_b128 v245, v[96:99]
	ds_write_b128 v245, v[84:87] offset:16
	buffer_load_dword v0, off, s[52:55], 0 offset:860 ; 4-byte Folded Reload
	v_fma_f64 v[100:101], v[164:165], 2.0, -v[88:89]
	v_fma_f64 v[102:103], v[166:167], 2.0, -v[90:91]
	v_add_f64 v[152:153], v[168:169], -v[172:173]
	v_add_f64 v[154:155], v[170:171], -v[174:175]
	v_fma_f64 v[172:173], v[184:185], 2.0, -v[156:157]
	v_fma_f64 v[174:175], v[186:187], 2.0, -v[158:159]
	;; [unrolled: 1-line block ×4, first 2 shown]
	v_add_f64 v[164:165], v[200:201], -v[196:197]
	v_add_f64 v[166:167], v[202:203], -v[198:199]
	v_fma_f64 v[168:169], v[168:169], 2.0, -v[152:153]
	v_fma_f64 v[170:171], v[170:171], 2.0, -v[154:155]
	v_add_f64 v[188:189], v[204:205], -v[208:209]
	v_add_f64 v[190:191], v[206:207], -v[210:211]
	;; [unrolled: 1-line block ×3, first 2 shown]
	v_fma_f64 v[210:211], v[218:219], 2.0, -v[194:195]
	v_fma_f64 v[184:185], v[200:201], 2.0, -v[164:165]
	;; [unrolled: 1-line block ×3, first 2 shown]
	v_add_f64 v[196:197], v[220:221], -v[224:225]
	v_add_f64 v[198:199], v[222:223], -v[226:227]
	v_fma_f64 v[204:205], v[204:205], 2.0, -v[188:189]
	v_fma_f64 v[206:207], v[206:207], 2.0, -v[190:191]
	;; [unrolled: 1-line block ×3, first 2 shown]
	v_add_f64 v[200:201], v[180:181], -v[233:234]
	v_add_f64 v[202:203], v[182:183], -v[235:236]
	s_waitcnt vmcnt(0)
	ds_write_b128 v0, v[100:103]
	ds_write_b128 v0, v[88:91] offset:16
	buffer_load_dword v0, off, s[52:55], 0 offset:856 ; 4-byte Folded Reload
	v_fma_f64 v[212:213], v[220:221], 2.0, -v[196:197]
	v_fma_f64 v[214:215], v[222:223], 2.0, -v[198:199]
	;; [unrolled: 1-line block ×4, first 2 shown]
	s_waitcnt vmcnt(0)
	ds_write_b128 v0, v[168:171]
	ds_write_b128 v0, v[152:155] offset:16
	buffer_load_dword v0, off, s[52:55], 0 offset:436 ; 4-byte Folded Reload
	s_waitcnt vmcnt(0)
	ds_write_b128 v0, v[172:175]
	ds_write_b128 v0, v[156:159] offset:16
	buffer_load_dword v0, off, s[52:55], 0 offset:852 ; 4-byte Folded Reload
	;; [unrolled: 4-line block ×7, first 2 shown]
	s_waitcnt vmcnt(0)
	ds_write_b128 v0, v[180:183]
	ds_write_b128 v0, v[200:203] offset:16
	s_waitcnt lgkmcnt(0)
	; wave barrier
	s_waitcnt lgkmcnt(0)
	ds_read_b128 v[84:87], v228
	ds_read_b128 v[0:3], v228 offset:1664
	ds_read_b128 v[92:95], v228 offset:2496
	;; [unrolled: 1-line block ×17, first 2 shown]
	s_waitcnt lgkmcnt(14)
	v_mul_f64 v[172:173], v[146:147], v[2:3]
	v_mul_f64 v[174:175], v[146:147], v[0:1]
	;; [unrolled: 1-line block ×4, first 2 shown]
	s_waitcnt lgkmcnt(12)
	v_mul_f64 v[216:217], v[122:123], v[98:99]
	v_mul_f64 v[218:219], v[122:123], v[96:97]
	ds_read_b128 v[204:207], v228 offset:15808
	ds_read_b128 v[208:211], v228 offset:16640
	v_fma_f64 v[220:221], v[144:145], v[0:1], v[172:173]
	v_fma_f64 v[222:223], v[144:145], v[2:3], -v[174:175]
	s_waitcnt lgkmcnt(12)
	v_mul_f64 v[0:1], v[110:111], v[102:103]
	v_mul_f64 v[2:3], v[110:111], v[100:101]
	v_fma_f64 v[224:225], v[128:129], v[88:89], v[212:213]
	v_fma_f64 v[226:227], v[128:129], v[90:91], -v[214:215]
	s_waitcnt lgkmcnt(10)
	v_mul_f64 v[88:89], v[142:143], v[166:167]
	v_mul_f64 v[90:91], v[142:143], v[164:165]
	v_fma_f64 v[172:173], v[120:121], v[96:97], v[216:217]
	v_fma_f64 v[174:175], v[120:121], v[98:99], -v[218:219]
	v_fma_f64 v[100:101], v[108:109], v[100:101], v[0:1]
	v_fma_f64 v[102:103], v[108:109], v[102:103], -v[2:3]
	v_mul_f64 v[0:1], v[146:147], v[94:95]
	v_mul_f64 v[2:3], v[146:147], v[92:93]
	v_fma_f64 v[96:97], v[140:141], v[164:165], v[88:89]
	v_fma_f64 v[98:99], v[140:141], v[166:167], -v[90:91]
	v_mul_f64 v[146:147], v[130:131], v[154:155]
	v_mul_f64 v[130:131], v[130:131], v[152:153]
	s_waitcnt lgkmcnt(8)
	v_mul_f64 v[212:213], v[118:119], v[178:179]
	v_mul_f64 v[214:215], v[118:119], v[176:177]
	v_fma_f64 v[164:165], v[144:145], v[92:93], v[0:1]
	v_fma_f64 v[166:167], v[144:145], v[94:95], -v[2:3]
	v_mul_f64 v[2:3], v[122:123], v[158:159]
	v_mul_f64 v[92:93], v[122:123], v[156:157]
	v_add_f64 v[94:95], v[84:85], v[220:221]
	v_add_f64 v[122:123], v[86:87], v[222:223]
	v_fma_f64 v[0:1], v[128:129], v[154:155], -v[130:131]
	v_fma_f64 v[254:255], v[128:129], v[152:153], v[146:147]
	s_waitcnt lgkmcnt(6)
	v_mul_f64 v[128:129], v[114:115], v[184:185]
	s_waitcnt lgkmcnt(4)
	v_mul_f64 v[152:153], v[106:107], v[192:193]
	v_fma_f64 v[248:249], v[120:121], v[156:157], v[2:3]
	v_mul_f64 v[2:3], v[106:107], v[194:195]
	v_add_f64 v[130:131], v[94:95], v[224:225]
	v_add_f64 v[122:123], v[122:123], v[226:227]
	v_fma_f64 v[250:251], v[120:121], v[158:159], -v[92:93]
	s_waitcnt lgkmcnt(2)
	v_mul_f64 v[154:155], v[150:151], v[202:203]
	v_fma_f64 v[88:89], v[116:117], v[176:177], v[212:213]
	v_fma_f64 v[90:91], v[116:117], v[178:179], -v[214:215]
	v_mul_f64 v[216:217], v[114:115], v[186:187]
	v_fma_f64 v[120:121], v[104:105], v[192:193], v[2:3]
	v_add_f64 v[2:3], v[130:131], v[172:173]
	v_add_f64 v[130:131], v[122:123], v[174:175]
	v_fma_f64 v[94:95], v[112:113], v[186:187], -v[128:129]
	v_fma_f64 v[122:123], v[104:105], v[194:195], -v[152:153]
	s_waitcnt lgkmcnt(0)
	v_mul_f64 v[152:153], v[138:139], v[210:211]
	v_fma_f64 v[128:129], v[148:149], v[200:201], v[154:155]
	v_mul_f64 v[154:155], v[110:111], v[162:163]
	ds_read_b128 v[176:179], v228 offset:17472
	ds_read_b128 v[144:147], v228 offset:18304
	v_add_f64 v[2:3], v[2:3], v[100:101]
	v_add_f64 v[130:131], v[130:131], v[102:103]
	v_mul_f64 v[156:157], v[150:151], v[200:201]
	v_fma_f64 v[92:93], v[112:113], v[184:185], v[216:217]
	v_mul_f64 v[158:159], v[110:111], v[160:161]
	v_fma_f64 v[192:193], v[136:137], v[208:209], v[152:153]
	s_waitcnt lgkmcnt(0)
	v_mul_f64 v[152:153], v[134:135], v[146:147]
	v_fma_f64 v[160:161], v[108:109], v[160:161], v[154:155]
	v_add_f64 v[2:3], v[2:3], v[96:97]
	v_add_f64 v[130:131], v[130:131], v[98:99]
	v_mul_f64 v[154:155], v[142:143], v[170:171]
	v_mul_f64 v[142:143], v[142:143], v[168:169]
	v_fma_f64 v[110:111], v[148:149], v[202:203], -v[156:157]
	v_mul_f64 v[156:157], v[138:139], v[208:209]
	v_fma_f64 v[162:163], v[108:109], v[162:163], -v[158:159]
	v_mul_f64 v[108:109], v[134:135], v[144:145]
	v_add_f64 v[2:3], v[2:3], v[88:89]
	v_add_f64 v[130:131], v[130:131], v[90:91]
	v_fma_f64 v[200:201], v[132:133], v[144:145], v[152:153]
	v_fma_f64 v[152:153], v[140:141], v[168:169], v[154:155]
	v_fma_f64 v[154:155], v[140:141], v[170:171], -v[142:143]
	v_mul_f64 v[140:141], v[118:119], v[182:183]
	v_mul_f64 v[118:119], v[118:119], v[180:181]
	ds_read_b128 v[212:215], v228 offset:19136
	v_add_f64 v[2:3], v[2:3], v[92:93]
	v_add_f64 v[130:131], v[130:131], v[94:95]
	v_fma_f64 v[194:195], v[136:137], v[210:211], -v[156:157]
	ds_read_b128 v[156:159], v228 offset:19968
	v_fma_f64 v[108:109], v[132:133], v[146:147], -v[108:109]
	v_mul_f64 v[168:169], v[114:115], v[190:191]
	v_fma_f64 v[140:141], v[116:117], v[180:181], v[140:141]
	v_fma_f64 v[142:143], v[116:117], v[182:183], -v[118:119]
	s_waitcnt lgkmcnt(0)
	v_mul_f64 v[144:145], v[126:127], v[158:159]
	v_mul_f64 v[146:147], v[126:127], v[156:157]
	;; [unrolled: 1-line block ×5, first 2 shown]
	v_add_f64 v[2:3], v[2:3], v[120:121]
	v_add_f64 v[130:131], v[130:131], v[122:123]
	ds_read_b128 v[184:187], v228 offset:20800
	v_fma_f64 v[118:119], v[124:125], v[156:157], v[144:145]
	v_fma_f64 v[180:181], v[124:125], v[158:159], -v[146:147]
	v_fma_f64 v[146:147], v[112:113], v[190:191], -v[114:115]
	v_fma_f64 v[156:157], v[104:105], v[196:197], v[116:117]
	v_fma_f64 v[158:159], v[104:105], v[198:199], -v[106:107]
	v_mul_f64 v[104:105], v[150:151], v[206:207]
	v_mul_f64 v[106:107], v[150:151], v[204:205]
	v_add_f64 v[2:3], v[2:3], v[128:129]
	v_add_f64 v[114:115], v[130:131], v[110:111]
	v_mul_f64 v[116:117], v[138:139], v[176:177]
	v_fma_f64 v[144:145], v[112:113], v[188:189], v[168:169]
	v_mul_f64 v[112:113], v[138:139], v[178:179]
	v_mul_f64 v[130:131], v[134:135], v[214:215]
	v_fma_f64 v[150:151], v[148:149], v[204:205], v[104:105]
	v_fma_f64 v[148:149], v[148:149], v[206:207], -v[106:107]
	v_add_f64 v[104:105], v[2:3], v[192:193]
	v_add_f64 v[106:107], v[114:115], v[194:195]
	v_fma_f64 v[2:3], v[136:137], v[178:179], -v[116:117]
	v_add_f64 v[116:117], v[222:223], -v[180:181]
	v_mul_f64 v[134:135], v[134:135], v[212:213]
	v_fma_f64 v[252:253], v[136:137], v[176:177], v[112:113]
	v_fma_f64 v[168:169], v[132:133], v[212:213], v[130:131]
	s_waitcnt lgkmcnt(0)
	v_mul_f64 v[112:113], v[126:127], v[186:187]
	v_mul_f64 v[114:115], v[126:127], v[184:185]
	v_add_f64 v[106:107], v[106:107], v[108:109]
	v_add_f64 v[126:127], v[222:223], v[180:181]
	v_add_f64 v[130:131], v[220:221], v[118:119]
	v_mul_f64 v[138:139], v[116:117], s[24:25]
	v_fma_f64 v[170:171], v[132:133], v[214:215], -v[134:135]
	v_add_f64 v[104:105], v[104:105], v[200:201]
	v_add_f64 v[136:137], v[220:221], -v[118:119]
	v_fma_f64 v[132:133], v[124:125], v[184:185], v[112:113]
	v_fma_f64 v[134:135], v[124:125], v[186:187], -v[114:115]
	v_mul_f64 v[176:177], v[126:127], s[16:17]
	v_add_f64 v[106:107], v[106:107], v[180:181]
	v_fma_f64 v[112:113], v[130:131], s[16:17], v[138:139]
	v_mul_f64 v[114:115], v[116:117], s[8:9]
	v_fma_f64 v[124:125], v[130:131], s[16:17], -v[138:139]
	v_mul_f64 v[138:139], v[126:127], s[14:15]
	v_mul_f64 v[180:181], v[116:117], s[0:1]
	;; [unrolled: 1-line block ×6, first 2 shown]
	v_add_f64 v[104:105], v[104:105], v[118:119]
	v_fma_f64 v[118:119], v[136:137], s[20:21], v[176:177]
	v_fma_f64 v[176:177], v[136:137], s[24:25], v[176:177]
	;; [unrolled: 1-line block ×4, first 2 shown]
	v_fma_f64 v[114:115], v[130:131], s[14:15], -v[114:115]
	v_fma_f64 v[186:187], v[130:131], s[2:3], v[180:181]
	v_fma_f64 v[190:191], v[136:137], s[10:11], v[184:185]
	v_fma_f64 v[180:181], v[130:131], s[2:3], -v[180:181]
	v_mul_f64 v[196:197], v[126:127], s[26:27]
	v_fma_f64 v[198:199], v[130:131], s[26:27], v[188:189]
	v_fma_f64 v[188:189], v[130:131], s[26:27], -v[188:189]
	v_fma_f64 v[204:205], v[130:131], s[34:35], v[202:203]
	v_mul_f64 v[206:207], v[126:127], s[34:35]
	v_fma_f64 v[202:203], v[130:131], s[34:35], -v[202:203]
	v_fma_f64 v[208:209], v[130:131], s[40:41], v[116:117]
	v_fma_f64 v[116:117], v[130:131], s[40:41], -v[116:117]
	v_mul_f64 v[126:127], v[126:127], s[40:41]
	v_fma_f64 v[138:139], v[136:137], s[8:9], v[138:139]
	v_fma_f64 v[184:185], v[136:137], s[0:1], v[184:185]
	v_fma_f64 v[130:131], v[136:137], s[28:29], v[196:197]
	v_fma_f64 v[196:197], v[136:137], s[22:23], v[196:197]
	v_fma_f64 v[210:211], v[136:137], s[38:39], v[206:207]
	v_fma_f64 v[206:207], v[136:137], s[30:31], v[206:207]
	v_add_f64 v[112:113], v[84:85], v[112:113]
	v_fma_f64 v[212:213], v[136:137], s[42:43], v[126:127]
	v_fma_f64 v[126:127], v[136:137], s[36:37], v[126:127]
	v_add_f64 v[124:125], v[84:85], v[124:125]
	v_add_f64 v[136:137], v[86:87], v[176:177]
	;; [unrolled: 1-line block ×14, first 2 shown]
	v_add_f64 v[116:117], v[226:227], -v[108:109]
	v_add_f64 v[118:119], v[86:87], v[118:119]
	v_add_f64 v[138:139], v[86:87], v[138:139]
	;; [unrolled: 1-line block ×10, first 2 shown]
	v_mul_f64 v[212:213], v[116:117], s[8:9]
	v_add_f64 v[108:109], v[226:227], v[108:109]
	v_add_f64 v[200:201], v[224:225], -v[200:201]
	v_fma_f64 v[214:215], v[126:127], s[14:15], v[212:213]
	v_fma_f64 v[212:213], v[126:127], s[14:15], -v[212:213]
	v_add_f64 v[112:113], v[214:215], v[112:113]
	v_mul_f64 v[214:215], v[108:109], s[14:15]
	v_add_f64 v[124:125], v[212:213], v[124:125]
	v_fma_f64 v[212:213], v[200:201], s[8:9], v[214:215]
	v_fma_f64 v[216:217], v[200:201], s[18:19], v[214:215]
	v_add_f64 v[136:137], v[212:213], v[136:137]
	v_mul_f64 v[212:213], v[116:117], s[22:23]
	v_add_f64 v[118:119], v[216:217], v[118:119]
	v_fma_f64 v[214:215], v[126:127], s[26:27], v[212:213]
	v_fma_f64 v[212:213], v[126:127], s[26:27], -v[212:213]
	v_add_f64 v[176:177], v[214:215], v[176:177]
	v_mul_f64 v[214:215], v[108:109], s[26:27]
	v_add_f64 v[114:115], v[212:213], v[114:115]
	v_fma_f64 v[212:213], v[200:201], s[22:23], v[214:215]
	v_fma_f64 v[216:217], v[200:201], s[28:29], v[214:215]
	v_add_f64 v[138:139], v[212:213], v[138:139]
	v_mul_f64 v[212:213], v[116:117], s[36:37]
	v_add_f64 v[178:179], v[216:217], v[178:179]
	;; [unrolled: 10-line block ×3, first 2 shown]
	v_fma_f64 v[214:215], v[126:127], s[34:35], v[212:213]
	v_fma_f64 v[212:213], v[126:127], s[34:35], -v[212:213]
	v_add_f64 v[190:191], v[214:215], v[190:191]
	v_mul_f64 v[214:215], v[108:109], s[34:35]
	v_add_f64 v[188:189], v[212:213], v[188:189]
	v_fma_f64 v[212:213], v[200:201], s[38:39], v[214:215]
	v_fma_f64 v[216:217], v[200:201], s[30:31], v[214:215]
	v_add_f64 v[196:197], v[212:213], v[196:197]
	v_mul_f64 v[212:213], v[116:117], s[10:11]
	v_mul_f64 v[116:117], v[116:117], s[20:21]
	v_add_f64 v[130:131], v[216:217], v[130:131]
	v_fma_f64 v[214:215], v[126:127], s[2:3], v[212:213]
	v_fma_f64 v[212:213], v[126:127], s[2:3], -v[212:213]
	v_add_f64 v[198:199], v[214:215], v[198:199]
	v_mul_f64 v[214:215], v[108:109], s[2:3]
	v_add_f64 v[202:203], v[212:213], v[202:203]
	v_add_f64 v[212:213], v[174:175], -v[194:195]
	v_add_f64 v[174:175], v[174:175], v[194:195]
	v_mul_f64 v[108:109], v[108:109], s[16:17]
	v_fma_f64 v[194:195], v[200:201], s[10:11], v[214:215]
	v_fma_f64 v[216:217], v[200:201], s[0:1], v[214:215]
	v_add_f64 v[194:195], v[194:195], v[206:207]
	v_fma_f64 v[206:207], v[126:127], s[16:17], v[116:117]
	v_fma_f64 v[116:117], v[126:127], s[16:17], -v[116:117]
	v_add_f64 v[126:127], v[172:173], v[192:193]
	v_add_f64 v[172:173], v[172:173], -v[192:193]
	v_fma_f64 v[192:193], v[200:201], s[24:25], v[108:109]
	v_fma_f64 v[108:109], v[200:201], s[20:21], v[108:109]
	v_mul_f64 v[200:201], v[174:175], s[2:3]
	v_add_f64 v[204:205], v[216:217], v[204:205]
	v_add_f64 v[206:207], v[206:207], v[208:209]
	v_mul_f64 v[208:209], v[212:213], s[0:1]
	v_add_f64 v[84:85], v[116:117], v[84:85]
	v_add_f64 v[192:193], v[192:193], v[210:211]
	v_add_f64 v[86:87], v[108:109], v[86:87]
	v_fma_f64 v[116:117], v[172:173], s[10:11], v[200:201]
	v_mul_f64 v[108:109], v[212:213], s[36:37]
	v_fma_f64 v[200:201], v[172:173], s[0:1], v[200:201]
	v_fma_f64 v[210:211], v[126:127], s[2:3], v[208:209]
	v_fma_f64 v[208:209], v[126:127], s[2:3], -v[208:209]
	v_add_f64 v[116:117], v[116:117], v[118:119]
	v_fma_f64 v[118:119], v[126:127], s[40:41], v[108:109]
	v_add_f64 v[136:137], v[200:201], v[136:137]
	v_add_f64 v[112:113], v[210:211], v[112:113]
	v_mul_f64 v[210:211], v[174:175], s[40:41]
	v_add_f64 v[124:125], v[208:209], v[124:125]
	v_mul_f64 v[200:201], v[212:213], s[28:29]
	v_fma_f64 v[108:109], v[126:127], s[40:41], -v[108:109]
	v_add_f64 v[118:119], v[118:119], v[176:177]
	v_mul_f64 v[176:177], v[174:175], s[26:27]
	v_fma_f64 v[208:209], v[172:173], s[42:43], v[210:211]
	v_fma_f64 v[210:211], v[172:173], s[36:37], v[210:211]
	v_add_f64 v[108:109], v[108:109], v[114:115]
	v_fma_f64 v[114:115], v[172:173], s[22:23], v[176:177]
	v_fma_f64 v[176:177], v[172:173], s[28:29], v[176:177]
	v_add_f64 v[178:179], v[208:209], v[178:179]
	v_fma_f64 v[208:209], v[126:127], s[26:27], v[200:201]
	v_add_f64 v[138:139], v[210:211], v[138:139]
	v_mul_f64 v[210:211], v[212:213], s[20:21]
	v_fma_f64 v[200:201], v[126:127], s[26:27], -v[200:201]
	v_add_f64 v[114:115], v[114:115], v[186:187]
	v_add_f64 v[176:177], v[176:177], v[184:185]
	;; [unrolled: 1-line block ×3, first 2 shown]
	v_mul_f64 v[208:209], v[174:175], s[16:17]
	v_fma_f64 v[186:187], v[126:127], s[16:17], v[210:211]
	v_add_f64 v[180:181], v[200:201], v[180:181]
	v_mul_f64 v[200:201], v[212:213], s[8:9]
	v_fma_f64 v[184:185], v[172:173], s[24:25], v[208:209]
	v_add_f64 v[186:187], v[186:187], v[190:191]
	v_fma_f64 v[190:191], v[126:127], s[16:17], -v[210:211]
	v_mul_f64 v[210:211], v[174:175], s[14:15]
	v_fma_f64 v[208:209], v[172:173], s[20:21], v[208:209]
	v_mul_f64 v[174:175], v[174:175], s[34:35]
	v_add_f64 v[130:131], v[184:185], v[130:131]
	v_fma_f64 v[184:185], v[126:127], s[14:15], v[200:201]
	v_add_f64 v[188:189], v[190:191], v[188:189]
	v_fma_f64 v[190:191], v[172:173], s[18:19], v[210:211]
	v_add_f64 v[196:197], v[208:209], v[196:197]
	v_fma_f64 v[200:201], v[126:127], s[14:15], -v[200:201]
	v_add_f64 v[208:209], v[100:101], v[128:129]
	v_add_f64 v[100:101], v[100:101], -v[128:129]
	v_add_f64 v[184:185], v[184:185], v[198:199]
	v_add_f64 v[198:199], v[102:103], -v[110:111]
	v_add_f64 v[102:103], v[102:103], v[110:111]
	v_mul_f64 v[110:111], v[212:213], s[30:31]
	v_add_f64 v[190:191], v[190:191], v[204:205]
	v_fma_f64 v[204:205], v[172:173], s[8:9], v[210:211]
	v_add_f64 v[200:201], v[200:201], v[202:203]
	v_mul_f64 v[128:129], v[198:199], s[22:23]
	v_mul_f64 v[210:211], v[102:103], s[26:27]
	v_fma_f64 v[212:213], v[126:127], s[34:35], v[110:111]
	v_fma_f64 v[110:111], v[126:127], s[34:35], -v[110:111]
	v_fma_f64 v[126:127], v[172:173], s[38:39], v[174:175]
	v_fma_f64 v[172:173], v[172:173], s[30:31], v[174:175]
	v_add_f64 v[194:195], v[204:205], v[194:195]
	v_fma_f64 v[174:175], v[208:209], s[26:27], v[128:129]
	v_fma_f64 v[202:203], v[100:101], s[28:29], v[210:211]
	v_add_f64 v[204:205], v[212:213], v[206:207]
	v_add_f64 v[84:85], v[110:111], v[84:85]
	v_mul_f64 v[110:111], v[198:199], s[38:39]
	v_add_f64 v[86:87], v[172:173], v[86:87]
	v_mul_f64 v[172:173], v[102:103], s[34:35]
	v_add_f64 v[126:127], v[126:127], v[192:193]
	v_add_f64 v[112:113], v[174:175], v[112:113]
	v_fma_f64 v[174:175], v[100:101], s[22:23], v[210:211]
	v_add_f64 v[116:117], v[202:203], v[116:117]
	v_fma_f64 v[128:129], v[208:209], s[26:27], -v[128:129]
	v_fma_f64 v[206:207], v[208:209], s[34:35], v[110:111]
	v_fma_f64 v[110:111], v[208:209], s[34:35], -v[110:111]
	v_fma_f64 v[210:211], v[100:101], s[30:31], v[172:173]
	v_fma_f64 v[172:173], v[100:101], s[38:39], v[172:173]
	v_mul_f64 v[192:193], v[198:199], s[20:21]
	v_mul_f64 v[202:203], v[102:103], s[16:17]
	v_add_f64 v[124:125], v[128:129], v[124:125]
	v_add_f64 v[128:129], v[174:175], v[136:137]
	;; [unrolled: 1-line block ×5, first 2 shown]
	v_mul_f64 v[138:139], v[198:199], s[0:1]
	v_mul_f64 v[172:173], v[102:103], s[2:3]
	v_fma_f64 v[136:137], v[208:209], s[16:17], v[192:193]
	v_fma_f64 v[174:175], v[100:101], s[24:25], v[202:203]
	v_add_f64 v[178:179], v[210:211], v[178:179]
	v_fma_f64 v[202:203], v[100:101], s[20:21], v[202:203]
	v_fma_f64 v[206:207], v[208:209], s[2:3], v[138:139]
	v_fma_f64 v[138:139], v[208:209], s[2:3], -v[138:139]
	v_fma_f64 v[212:213], v[100:101], s[0:1], v[172:173]
	v_add_f64 v[136:137], v[136:137], v[182:183]
	v_add_f64 v[114:115], v[174:175], v[114:115]
	v_mul_f64 v[182:183], v[198:199], s[42:43]
	v_fma_f64 v[174:175], v[208:209], s[16:17], -v[192:193]
	v_mul_f64 v[192:193], v[102:103], s[40:41]
	v_fma_f64 v[210:211], v[100:101], s[10:11], v[172:173]
	v_add_f64 v[138:139], v[138:139], v[188:189]
	v_add_f64 v[188:189], v[212:213], v[196:197]
	v_add_f64 v[196:197], v[98:99], -v[122:123]
	v_add_f64 v[98:99], v[98:99], v[122:123]
	v_mul_f64 v[102:103], v[102:103], s[14:15]
	v_fma_f64 v[214:215], v[208:209], s[40:41], v[182:183]
	v_fma_f64 v[216:217], v[100:101], s[36:37], v[192:193]
	v_add_f64 v[176:177], v[202:203], v[176:177]
	v_add_f64 v[130:131], v[210:211], v[130:131]
	v_mul_f64 v[122:123], v[198:199], s[18:19]
	v_fma_f64 v[182:183], v[208:209], s[40:41], -v[182:183]
	v_fma_f64 v[192:193], v[100:101], s[42:43], v[192:193]
	v_add_f64 v[198:199], v[96:97], v[120:121]
	v_add_f64 v[96:97], v[96:97], -v[120:121]
	v_mul_f64 v[120:121], v[196:197], s[30:31]
	v_mul_f64 v[202:203], v[98:99], s[34:35]
	v_fma_f64 v[210:211], v[100:101], s[8:9], v[102:103]
	v_fma_f64 v[100:101], v[100:101], s[18:19], v[102:103]
	v_add_f64 v[186:187], v[206:207], v[186:187]
	v_fma_f64 v[206:207], v[208:209], s[14:15], v[122:123]
	v_fma_f64 v[122:123], v[208:209], s[14:15], -v[122:123]
	v_add_f64 v[102:103], v[182:183], v[200:201]
	v_add_f64 v[182:183], v[192:193], v[194:195]
	v_fma_f64 v[192:193], v[198:199], s[34:35], v[120:121]
	v_fma_f64 v[194:195], v[96:97], s[38:39], v[202:203]
	v_add_f64 v[86:87], v[100:101], v[86:87]
	v_mul_f64 v[100:101], v[196:197], s[10:11]
	v_add_f64 v[200:201], v[206:207], v[204:205]
	v_add_f64 v[84:85], v[122:123], v[84:85]
	v_mul_f64 v[122:123], v[98:99], s[2:3]
	v_fma_f64 v[120:121], v[198:199], s[34:35], -v[120:121]
	v_add_f64 v[112:113], v[192:193], v[112:113]
	v_add_f64 v[116:117], v[194:195], v[116:117]
	v_fma_f64 v[192:193], v[96:97], s[30:31], v[202:203]
	v_mul_f64 v[194:195], v[196:197], s[8:9]
	v_mul_f64 v[202:203], v[98:99], s[14:15]
	v_fma_f64 v[204:205], v[198:199], s[2:3], v[100:101]
	v_fma_f64 v[100:101], v[198:199], s[2:3], -v[100:101]
	v_fma_f64 v[206:207], v[96:97], s[0:1], v[122:123]
	v_fma_f64 v[122:123], v[96:97], s[10:11], v[122:123]
	v_add_f64 v[120:121], v[120:121], v[124:125]
	v_add_f64 v[124:125], v[192:193], v[128:129]
	v_fma_f64 v[128:129], v[198:199], s[14:15], v[194:195]
	v_fma_f64 v[192:193], v[96:97], s[18:19], v[202:203]
	v_add_f64 v[180:181], v[174:175], v[180:181]
	v_add_f64 v[100:101], v[100:101], v[108:109]
	v_mul_f64 v[108:109], v[196:197], s[42:43]
	v_add_f64 v[118:119], v[204:205], v[118:119]
	v_add_f64 v[122:123], v[122:123], v[110:111]
	v_mul_f64 v[110:111], v[98:99], s[40:41]
	v_add_f64 v[128:129], v[128:129], v[136:137]
	v_add_f64 v[114:115], v[192:193], v[114:115]
	v_fma_f64 v[136:137], v[198:199], s[14:15], -v[194:195]
	v_fma_f64 v[192:193], v[96:97], s[8:9], v[202:203]
	v_mul_f64 v[194:195], v[196:197], s[20:21]
	v_mul_f64 v[202:203], v[98:99], s[16:17]
	v_fma_f64 v[204:205], v[198:199], s[40:41], v[108:109]
	v_fma_f64 v[108:109], v[198:199], s[40:41], -v[108:109]
	v_add_f64 v[184:185], v[214:215], v[184:185]
	v_add_f64 v[190:191], v[216:217], v[190:191]
	;; [unrolled: 1-line block ×3, first 2 shown]
	v_fma_f64 v[206:207], v[96:97], s[36:37], v[110:111]
	v_fma_f64 v[110:111], v[96:97], s[42:43], v[110:111]
	v_add_f64 v[136:137], v[136:137], v[180:181]
	v_add_f64 v[176:177], v[192:193], v[176:177]
	v_fma_f64 v[180:181], v[198:199], s[16:17], v[194:195]
	v_fma_f64 v[192:193], v[96:97], s[24:25], v[202:203]
	v_add_f64 v[138:139], v[108:109], v[138:139]
	v_mul_f64 v[108:109], v[196:197], s[22:23]
	v_mul_f64 v[98:99], v[98:99], s[26:27]
	v_add_f64 v[126:127], v[210:211], v[126:127]
	v_add_f64 v[188:189], v[110:111], v[188:189]
	v_fma_f64 v[110:111], v[198:199], s[16:17], -v[194:195]
	v_add_f64 v[180:181], v[180:181], v[184:185]
	v_add_f64 v[184:185], v[192:193], v[190:191]
	v_fma_f64 v[190:191], v[96:97], s[20:21], v[202:203]
	v_add_f64 v[192:193], v[90:91], -v[94:95]
	v_add_f64 v[194:195], v[90:91], v[94:95]
	v_fma_f64 v[90:91], v[198:199], s[26:27], v[108:109]
	v_fma_f64 v[94:95], v[96:97], s[28:29], v[98:99]
	ds_read_b128 v[172:175], v228 offset:832
	v_fma_f64 v[108:109], v[198:199], s[26:27], -v[108:109]
	v_fma_f64 v[96:97], v[96:97], s[22:23], v[98:99]
	v_add_f64 v[196:197], v[88:89], v[92:93]
	v_add_f64 v[198:199], v[88:89], -v[92:93]
	v_mul_f64 v[92:93], v[194:195], s[40:41]
	v_add_f64 v[182:183], v[190:191], v[182:183]
	v_add_f64 v[190:191], v[90:91], v[200:201]
	;; [unrolled: 1-line block ×3, first 2 shown]
	s_waitcnt lgkmcnt(0)
	v_add_f64 v[90:91], v[172:173], v[164:165]
	v_add_f64 v[94:95], v[174:175], v[166:167]
	v_add_f64 v[186:187], v[204:205], v[186:187]
	v_add_f64 v[130:131], v[206:207], v[130:131]
	v_mul_f64 v[88:89], v[192:193], s[36:37]
	v_add_f64 v[204:205], v[108:109], v[84:85]
	v_add_f64 v[206:207], v[96:97], v[86:87]
	v_fma_f64 v[86:87], v[198:199], s[42:43], v[92:93]
	v_fma_f64 v[92:93], v[198:199], s[36:37], v[92:93]
	v_mul_f64 v[108:109], v[194:195], s[16:17]
	v_add_f64 v[90:91], v[90:91], v[254:255]
	v_add_f64 v[94:95], v[94:95], v[0:1]
	;; [unrolled: 1-line block ×3, first 2 shown]
	v_fma_f64 v[84:85], v[196:197], s[40:41], v[88:89]
	v_fma_f64 v[88:89], v[196:197], s[40:41], -v[88:89]
	v_mul_f64 v[102:103], v[192:193], s[20:21]
	v_add_f64 v[98:99], v[86:87], v[116:117]
	v_add_f64 v[86:87], v[92:93], v[124:125]
	v_fma_f64 v[92:93], v[198:199], s[24:25], v[108:109]
	v_add_f64 v[116:117], v[90:91], v[248:249]
	v_add_f64 v[94:95], v[94:95], v[250:251]
	;; [unrolled: 1-line block ×4, first 2 shown]
	v_fma_f64 v[88:89], v[196:197], s[16:17], v[102:103]
	v_fma_f64 v[102:103], v[196:197], s[16:17], -v[102:103]
	v_fma_f64 v[112:113], v[198:199], s[20:21], v[108:109]
	v_mul_f64 v[124:125], v[194:195], s[34:35]
	v_add_f64 v[110:111], v[92:93], v[178:179]
	v_add_f64 v[92:93], v[116:117], v[160:161]
	;; [unrolled: 1-line block ×3, first 2 shown]
	v_mul_f64 v[120:121], v[192:193], s[30:31]
	v_add_f64 v[108:109], v[88:89], v[118:119]
	v_add_f64 v[88:89], v[102:103], v[100:101]
	;; [unrolled: 1-line block ×3, first 2 shown]
	v_fma_f64 v[102:103], v[198:199], s[38:39], v[124:125]
	v_fma_f64 v[122:123], v[198:199], s[30:31], v[124:125]
	v_add_f64 v[124:125], v[92:93], v[152:153]
	v_add_f64 v[126:127], v[94:95], v[154:155]
	v_fma_f64 v[100:101], v[196:197], s[34:35], v[120:121]
	v_fma_f64 v[118:119], v[196:197], s[34:35], -v[120:121]
	v_mul_f64 v[120:121], v[194:195], s[14:15]
	v_mul_f64 v[116:117], v[192:193], s[18:19]
	v_add_f64 v[114:115], v[102:103], v[114:115]
	v_add_f64 v[94:95], v[122:123], v[176:177]
	;; [unrolled: 1-line block ×6, first 2 shown]
	v_fma_f64 v[102:103], v[198:199], s[8:9], v[120:121]
	v_fma_f64 v[100:101], v[196:197], s[14:15], v[116:117]
	v_fma_f64 v[126:127], v[196:197], s[14:15], -v[116:117]
	v_fma_f64 v[120:121], v[198:199], s[18:19], v[120:121]
	v_mul_f64 v[128:129], v[192:193], s[22:23]
	v_add_f64 v[124:125], v[124:125], v[146:147]
	v_add_f64 v[122:123], v[122:123], v[144:145]
	v_mul_f64 v[136:137], v[192:193], s[10:11]
	v_add_f64 v[118:119], v[102:103], v[130:131]
	v_mul_f64 v[130:131], v[194:195], s[26:27]
	v_add_f64 v[116:117], v[100:101], v[186:187]
	v_add_f64 v[100:101], v[126:127], v[138:139]
	;; [unrolled: 1-line block ×4, first 2 shown]
	v_fma_f64 v[120:121], v[196:197], s[26:27], v[128:129]
	v_mul_f64 v[138:139], v[194:195], s[2:3]
	v_add_f64 v[122:123], v[122:123], v[156:157]
	v_fma_f64 v[126:127], v[198:199], s[28:29], v[130:131]
	v_fma_f64 v[128:129], v[196:197], s[26:27], -v[128:129]
	v_fma_f64 v[130:131], v[198:199], s[22:23], v[130:131]
	v_fma_f64 v[178:179], v[196:197], s[2:3], v[136:137]
	v_add_f64 v[176:177], v[176:177], v[148:149]
	v_add_f64 v[124:125], v[120:121], v[180:181]
	v_fma_f64 v[180:181], v[198:199], s[0:1], v[138:139]
	v_fma_f64 v[136:137], v[196:197], s[2:3], -v[136:137]
	v_add_f64 v[126:127], v[126:127], v[184:185]
	v_add_f64 v[184:185], v[122:123], v[150:151]
	;; [unrolled: 1-line block ×6, first 2 shown]
	v_add_f64 v[178:179], v[166:167], -v[134:135]
	v_add_f64 v[130:131], v[180:181], v[200:201]
	v_add_f64 v[166:167], v[166:167], v[134:135]
	;; [unrolled: 1-line block ×3, first 2 shown]
	v_fma_f64 v[138:139], v[198:199], s[10:11], v[138:139]
	v_add_f64 v[182:183], v[164:165], v[132:133]
	v_add_f64 v[176:177], v[176:177], v[170:171]
	v_add_f64 v[164:165], v[164:165], -v[132:133]
	v_mul_f64 v[184:185], v[178:179], s[24:25]
	v_add_f64 v[136:137], v[136:137], v[204:205]
	v_mul_f64 v[186:187], v[166:167], s[16:17]
	v_add_f64 v[180:181], v[180:181], v[168:169]
	v_mul_f64 v[188:189], v[178:179], s[8:9]
	v_mul_f64 v[192:193], v[166:167], s[14:15]
	v_add_f64 v[134:135], v[176:177], v[134:135]
	v_mul_f64 v[176:177], v[178:179], s[0:1]
	v_mul_f64 v[196:197], v[178:179], s[22:23]
	;; [unrolled: 1-line block ×8, first 2 shown]
	v_add_f64 v[138:139], v[138:139], v[206:207]
	v_fma_f64 v[190:191], v[182:183], s[16:17], v[184:185]
	v_fma_f64 v[194:195], v[164:165], s[20:21], v[186:187]
	v_add_f64 v[132:133], v[180:181], v[132:133]
	v_fma_f64 v[180:181], v[182:183], s[16:17], -v[184:185]
	v_fma_f64 v[184:185], v[164:165], s[24:25], v[186:187]
	v_fma_f64 v[186:187], v[182:183], s[14:15], v[188:189]
	v_fma_f64 v[188:189], v[182:183], s[14:15], -v[188:189]
	v_fma_f64 v[202:203], v[182:183], s[2:3], v[176:177]
	v_fma_f64 v[176:177], v[182:183], s[2:3], -v[176:177]
	;; [unrolled: 2-line block ×5, first 2 shown]
	v_fma_f64 v[182:183], v[164:165], s[18:19], v[192:193]
	v_fma_f64 v[192:193], v[164:165], s[8:9], v[192:193]
	;; [unrolled: 1-line block ×10, first 2 shown]
	v_add_f64 v[166:167], v[172:173], v[190:191]
	v_add_f64 v[190:191], v[174:175], v[194:195]
	;; [unrolled: 1-line block ×14, first 2 shown]
	v_add_f64 v[174:175], v[0:1], -v[170:171]
	v_add_f64 v[180:181], v[172:173], v[180:181]
	v_add_f64 v[186:187], v[172:173], v[186:187]
	;; [unrolled: 1-line block ×12, first 2 shown]
	v_mul_f64 v[178:179], v[174:175], s[8:9]
	v_add_f64 v[168:169], v[254:255], -v[168:169]
	s_waitcnt lgkmcnt(0)
	; wave barrier
	v_fma_f64 v[220:221], v[170:171], s[14:15], v[178:179]
	v_fma_f64 v[178:179], v[170:171], s[14:15], -v[178:179]
	v_add_f64 v[166:167], v[220:221], v[166:167]
	v_mul_f64 v[220:221], v[0:1], s[14:15]
	v_add_f64 v[178:179], v[178:179], v[180:181]
	v_fma_f64 v[180:181], v[168:169], s[8:9], v[220:221]
	v_fma_f64 v[222:223], v[168:169], s[18:19], v[220:221]
	v_add_f64 v[180:181], v[180:181], v[184:185]
	v_mul_f64 v[184:185], v[174:175], s[22:23]
	v_add_f64 v[190:191], v[222:223], v[190:191]
	v_fma_f64 v[220:221], v[170:171], s[26:27], v[184:185]
	v_fma_f64 v[184:185], v[170:171], s[26:27], -v[184:185]
	v_add_f64 v[186:187], v[220:221], v[186:187]
	v_mul_f64 v[220:221], v[0:1], s[26:27]
	v_add_f64 v[184:185], v[184:185], v[188:189]
	v_fma_f64 v[188:189], v[168:169], s[22:23], v[220:221]
	v_fma_f64 v[222:223], v[168:169], s[28:29], v[220:221]
	v_add_f64 v[188:189], v[188:189], v[192:193]
	v_mul_f64 v[192:193], v[174:175], s[36:37]
	v_add_f64 v[182:183], v[222:223], v[182:183]
	;; [unrolled: 10-line block ×4, first 2 shown]
	v_mul_f64 v[174:175], v[174:175], s[20:21]
	v_fma_f64 v[220:221], v[170:171], s[2:3], v[204:205]
	v_fma_f64 v[204:205], v[170:171], s[2:3], -v[204:205]
	v_add_f64 v[210:211], v[220:221], v[210:211]
	v_mul_f64 v[220:221], v[0:1], s[2:3]
	v_add_f64 v[200:201], v[204:205], v[200:201]
	v_add_f64 v[204:205], v[250:251], -v[2:3]
	v_mul_f64 v[0:1], v[0:1], s[16:17]
	v_add_f64 v[2:3], v[250:251], v[2:3]
	v_fma_f64 v[222:223], v[168:169], s[0:1], v[220:221]
	v_fma_f64 v[220:221], v[168:169], s[10:11], v[220:221]
	v_add_f64 v[216:217], v[222:223], v[216:217]
	v_add_f64 v[208:209], v[220:221], v[208:209]
	v_fma_f64 v[220:221], v[170:171], s[16:17], v[174:175]
	v_fma_f64 v[170:171], v[170:171], s[16:17], -v[174:175]
	v_add_f64 v[174:175], v[248:249], v[252:253]
	v_add_f64 v[222:223], v[248:249], -v[252:253]
	v_add_f64 v[212:213], v[220:221], v[212:213]
	v_fma_f64 v[220:221], v[168:169], s[24:25], v[0:1]
	v_fma_f64 v[0:1], v[168:169], s[20:21], v[0:1]
	v_mul_f64 v[168:169], v[204:205], s[0:1]
	v_add_f64 v[170:171], v[170:171], v[172:173]
	v_add_f64 v[218:219], v[220:221], v[218:219]
	;; [unrolled: 1-line block ×3, first 2 shown]
	v_fma_f64 v[172:173], v[174:175], s[2:3], v[168:169]
	v_mul_f64 v[164:165], v[2:3], s[2:3]
	v_fma_f64 v[168:169], v[174:175], s[2:3], -v[168:169]
	v_add_f64 v[166:167], v[172:173], v[166:167]
	v_fma_f64 v[172:173], v[222:223], s[10:11], v[164:165]
	v_fma_f64 v[164:165], v[222:223], s[0:1], v[164:165]
	v_add_f64 v[168:169], v[168:169], v[178:179]
	v_add_f64 v[172:173], v[172:173], v[190:191]
	v_mul_f64 v[190:191], v[204:205], s[36:37]
	v_add_f64 v[164:165], v[164:165], v[180:181]
	v_mul_f64 v[180:181], v[2:3], s[40:41]
	v_fma_f64 v[178:179], v[174:175], s[40:41], v[190:191]
	v_fma_f64 v[190:191], v[174:175], s[40:41], -v[190:191]
	v_add_f64 v[178:179], v[178:179], v[186:187]
	v_fma_f64 v[186:187], v[222:223], s[42:43], v[180:181]
	v_fma_f64 v[180:181], v[222:223], s[36:37], v[180:181]
	v_add_f64 v[184:185], v[190:191], v[184:185]
	v_add_f64 v[182:183], v[186:187], v[182:183]
	v_mul_f64 v[186:187], v[204:205], s[28:29]
	v_add_f64 v[180:181], v[180:181], v[188:189]
	v_mul_f64 v[188:189], v[2:3], s[26:27]
	v_fma_f64 v[190:191], v[174:175], s[26:27], v[186:187]
	v_fma_f64 v[186:187], v[174:175], s[26:27], -v[186:187]
	v_add_f64 v[190:191], v[190:191], v[194:195]
	v_fma_f64 v[194:195], v[222:223], s[22:23], v[188:189]
	v_fma_f64 v[188:189], v[222:223], s[28:29], v[188:189]
	v_add_f64 v[176:177], v[186:187], v[176:177]
	v_add_f64 v[194:195], v[194:195], v[202:203]
	v_mul_f64 v[202:203], v[204:205], s[20:21]
	v_add_f64 v[188:189], v[188:189], v[192:193]
	v_mul_f64 v[192:193], v[2:3], s[16:17]
	v_fma_f64 v[186:187], v[174:175], s[16:17], v[202:203]
	v_fma_f64 v[202:203], v[174:175], s[16:17], -v[202:203]
	v_add_f64 v[186:187], v[186:187], v[206:207]
	v_fma_f64 v[206:207], v[222:223], s[24:25], v[192:193]
	v_fma_f64 v[192:193], v[222:223], s[20:21], v[192:193]
	v_add_f64 v[196:197], v[202:203], v[196:197]
	v_add_f64 v[206:207], v[206:207], v[214:215]
	v_mul_f64 v[214:215], v[204:205], s[8:9]
	v_add_f64 v[192:193], v[192:193], v[198:199]
	v_mul_f64 v[198:199], v[2:3], s[14:15]
	v_mul_f64 v[204:205], v[204:205], s[30:31]
	;; [unrolled: 1-line block ×3, first 2 shown]
	v_fma_f64 v[202:203], v[174:175], s[14:15], v[214:215]
	v_add_f64 v[202:203], v[202:203], v[210:211]
	v_fma_f64 v[210:211], v[222:223], s[18:19], v[198:199]
	v_fma_f64 v[198:199], v[222:223], s[8:9], v[198:199]
	v_add_f64 v[210:211], v[210:211], v[216:217]
	v_add_f64 v[216:217], v[162:163], -v[148:149]
	v_add_f64 v[148:149], v[162:163], v[148:149]
	v_fma_f64 v[162:163], v[174:175], s[14:15], -v[214:215]
	v_add_f64 v[214:215], v[160:161], v[150:151]
	v_add_f64 v[150:151], v[160:161], -v[150:151]
	v_fma_f64 v[160:161], v[174:175], s[34:35], v[204:205]
	v_fma_f64 v[174:175], v[174:175], s[34:35], -v[204:205]
	v_fma_f64 v[204:205], v[222:223], s[38:39], v[2:3]
	v_fma_f64 v[2:3], v[222:223], s[30:31], v[2:3]
	v_mul_f64 v[220:221], v[216:217], s[22:23]
	v_add_f64 v[162:163], v[162:163], v[200:201]
	v_mul_f64 v[200:201], v[148:149], s[26:27]
	v_add_f64 v[198:199], v[198:199], v[208:209]
	v_add_f64 v[160:161], v[160:161], v[212:213]
	;; [unrolled: 1-line block ×5, first 2 shown]
	v_fma_f64 v[208:209], v[214:215], s[26:27], v[220:221]
	v_mul_f64 v[2:3], v[216:217], s[38:39]
	v_fma_f64 v[212:213], v[150:151], s[28:29], v[200:201]
	v_fma_f64 v[174:175], v[214:215], s[26:27], -v[220:221]
	v_mul_f64 v[218:219], v[148:149], s[34:35]
	v_fma_f64 v[200:201], v[150:151], s[22:23], v[200:201]
	v_add_f64 v[166:167], v[208:209], v[166:167]
	v_mul_f64 v[208:209], v[216:217], s[20:21]
	v_add_f64 v[172:173], v[212:213], v[172:173]
	v_mul_f64 v[212:213], v[148:149], s[16:17]
	v_fma_f64 v[220:221], v[214:215], s[34:35], v[2:3]
	v_add_f64 v[168:169], v[174:175], v[168:169]
	v_fma_f64 v[174:175], v[150:151], s[30:31], v[218:219]
	v_fma_f64 v[2:3], v[214:215], s[34:35], -v[2:3]
	v_fma_f64 v[218:219], v[150:151], s[38:39], v[218:219]
	v_add_f64 v[164:165], v[200:201], v[164:165]
	v_fma_f64 v[200:201], v[214:215], s[16:17], v[208:209]
	v_add_f64 v[178:179], v[220:221], v[178:179]
	;; [unrolled: 2-line block ×3, first 2 shown]
	v_add_f64 v[2:3], v[2:3], v[184:185]
	v_mul_f64 v[182:183], v[216:217], s[0:1]
	v_fma_f64 v[184:185], v[214:215], s[16:17], -v[208:209]
	v_mul_f64 v[208:209], v[148:149], s[2:3]
	v_add_f64 v[180:181], v[218:219], v[180:181]
	v_add_f64 v[190:191], v[200:201], v[190:191]
	;; [unrolled: 1-line block ×3, first 2 shown]
	v_fma_f64 v[200:201], v[150:151], s[20:21], v[212:213]
	v_mul_f64 v[212:213], v[216:217], s[42:43]
	v_fma_f64 v[218:219], v[214:215], s[2:3], v[182:183]
	v_mul_f64 v[220:221], v[148:149], s[40:41]
	v_add_f64 v[176:177], v[184:185], v[176:177]
	v_fma_f64 v[184:185], v[150:151], s[10:11], v[208:209]
	v_fma_f64 v[182:183], v[214:215], s[2:3], -v[182:183]
	v_fma_f64 v[208:209], v[150:151], s[0:1], v[208:209]
	v_add_f64 v[188:189], v[200:201], v[188:189]
	v_fma_f64 v[200:201], v[214:215], s[40:41], v[212:213]
	v_add_f64 v[186:187], v[218:219], v[186:187]
	v_fma_f64 v[218:219], v[150:151], s[36:37], v[220:221]
	v_mul_f64 v[148:149], v[148:149], s[14:15]
	v_add_f64 v[184:185], v[184:185], v[206:207]
	v_add_f64 v[206:207], v[154:155], -v[158:159]
	v_add_f64 v[154:155], v[154:155], v[158:159]
	v_add_f64 v[182:183], v[182:183], v[196:197]
	;; [unrolled: 1-line block ×3, first 2 shown]
	v_mul_f64 v[196:197], v[216:217], s[18:19]
	v_add_f64 v[200:201], v[200:201], v[202:203]
	v_add_f64 v[202:203], v[218:219], v[210:211]
	v_fma_f64 v[158:159], v[214:215], s[40:41], -v[212:213]
	v_fma_f64 v[208:209], v[150:151], s[42:43], v[220:221]
	v_fma_f64 v[212:213], v[150:151], s[8:9], v[148:149]
	v_add_f64 v[216:217], v[152:153], v[156:157]
	v_add_f64 v[152:153], v[152:153], -v[156:157]
	v_mul_f64 v[156:157], v[206:207], s[30:31]
	v_mul_f64 v[218:219], v[154:155], s[34:35]
	v_fma_f64 v[210:211], v[214:215], s[14:15], v[196:197]
	v_fma_f64 v[196:197], v[214:215], s[14:15], -v[196:197]
	v_fma_f64 v[148:149], v[150:151], s[18:19], v[148:149]
	v_add_f64 v[150:151], v[158:159], v[162:163]
	v_add_f64 v[158:159], v[208:209], v[198:199]
	;; [unrolled: 1-line block ×3, first 2 shown]
	v_fma_f64 v[198:199], v[216:217], s[34:35], v[156:157]
	v_fma_f64 v[204:205], v[152:153], s[38:39], v[218:219]
	v_fma_f64 v[156:157], v[216:217], s[34:35], -v[156:157]
	v_add_f64 v[170:171], v[196:197], v[170:171]
	v_add_f64 v[0:1], v[148:149], v[0:1]
	v_mul_f64 v[148:149], v[206:207], s[10:11]
	v_mul_f64 v[196:197], v[154:155], s[2:3]
	v_fma_f64 v[208:209], v[152:153], s[30:31], v[218:219]
	v_add_f64 v[166:167], v[198:199], v[166:167]
	v_add_f64 v[172:173], v[204:205], v[172:173]
	v_mul_f64 v[198:199], v[206:207], s[8:9]
	v_mul_f64 v[204:205], v[154:155], s[14:15]
	v_add_f64 v[160:161], v[210:211], v[160:161]
	v_fma_f64 v[210:211], v[216:217], s[2:3], v[148:149]
	v_fma_f64 v[212:213], v[152:153], s[0:1], v[196:197]
	v_add_f64 v[156:157], v[156:157], v[168:169]
	v_add_f64 v[164:165], v[208:209], v[164:165]
	v_fma_f64 v[168:169], v[152:153], s[10:11], v[196:197]
	v_fma_f64 v[196:197], v[216:217], s[14:15], v[198:199]
	v_fma_f64 v[208:209], v[152:153], s[18:19], v[204:205]
	v_fma_f64 v[148:149], v[216:217], s[2:3], -v[148:149]
	v_add_f64 v[178:179], v[210:211], v[178:179]
	v_mul_f64 v[210:211], v[206:207], s[42:43]
	v_add_f64 v[174:175], v[212:213], v[174:175]
	v_mul_f64 v[212:213], v[154:155], s[40:41]
	v_add_f64 v[168:169], v[168:169], v[180:181]
	v_add_f64 v[180:181], v[196:197], v[190:191]
	;; [unrolled: 1-line block ×3, first 2 shown]
	v_fma_f64 v[194:195], v[152:153], s[8:9], v[204:205]
	v_mul_f64 v[208:209], v[154:155], s[16:17]
	v_add_f64 v[148:149], v[148:149], v[2:3]
	v_fma_f64 v[2:3], v[216:217], s[14:15], -v[198:199]
	v_fma_f64 v[196:197], v[216:217], s[40:41], v[210:211]
	v_mul_f64 v[204:205], v[206:207], s[20:21]
	v_fma_f64 v[198:199], v[152:153], s[36:37], v[212:213]
	v_fma_f64 v[210:211], v[216:217], s[40:41], -v[210:211]
	v_add_f64 v[188:189], v[194:195], v[188:189]
	v_fma_f64 v[194:195], v[152:153], s[24:25], v[208:209]
	v_mul_f64 v[154:155], v[154:155], s[26:27]
	v_add_f64 v[176:177], v[2:3], v[176:177]
	v_add_f64 v[186:187], v[196:197], v[186:187]
	v_fma_f64 v[2:3], v[216:217], s[16:17], v[204:205]
	v_fma_f64 v[196:197], v[216:217], s[16:17], -v[204:205]
	v_mul_f64 v[204:205], v[206:207], s[22:23]
	v_add_f64 v[206:207], v[142:143], v[146:147]
	v_add_f64 v[194:195], v[194:195], v[202:203]
	v_add_f64 v[202:203], v[142:143], -v[146:147]
	v_fma_f64 v[212:213], v[152:153], s[42:43], v[212:213]
	v_add_f64 v[184:185], v[198:199], v[184:185]
	v_add_f64 v[182:183], v[210:211], v[182:183]
	v_fma_f64 v[198:199], v[152:153], s[20:21], v[208:209]
	v_add_f64 v[200:201], v[2:3], v[200:201]
	v_add_f64 v[196:197], v[196:197], v[150:151]
	v_fma_f64 v[2:3], v[216:217], s[26:27], v[204:205]
	v_fma_f64 v[142:143], v[152:153], s[28:29], v[154:155]
	v_add_f64 v[208:209], v[140:141], v[144:145]
	v_add_f64 v[210:211], v[140:141], -v[144:145]
	v_mul_f64 v[140:141], v[202:203], s[36:37]
	v_mul_f64 v[144:145], v[206:207], s[40:41]
	v_fma_f64 v[146:147], v[216:217], s[26:27], -v[204:205]
	v_fma_f64 v[150:151], v[152:153], s[22:23], v[154:155]
	v_mul_f64 v[152:153], v[202:203], s[20:21]
	v_mul_f64 v[154:155], v[206:207], s[16:17]
	v_add_f64 v[192:193], v[212:213], v[192:193]
	v_add_f64 v[204:205], v[2:3], v[160:161]
	;; [unrolled: 1-line block ×3, first 2 shown]
	v_fma_f64 v[2:3], v[208:209], s[40:41], v[140:141]
	v_fma_f64 v[142:143], v[210:211], s[42:43], v[144:145]
	v_add_f64 v[214:215], v[146:147], v[170:171]
	v_add_f64 v[216:217], v[150:151], v[0:1]
	v_fma_f64 v[144:145], v[210:211], s[36:37], v[144:145]
	v_fma_f64 v[146:147], v[208:209], s[16:17], v[152:153]
	;; [unrolled: 1-line block ×3, first 2 shown]
	v_add_f64 v[198:199], v[198:199], v[158:159]
	v_fma_f64 v[140:141], v[208:209], s[40:41], -v[140:141]
	v_mul_f64 v[158:159], v[202:203], s[30:31]
	v_mul_f64 v[160:161], v[206:207], s[34:35]
	v_add_f64 v[0:1], v[2:3], v[166:167]
	v_add_f64 v[2:3], v[142:143], v[172:173]
	;; [unrolled: 1-line block ×5, first 2 shown]
	v_fma_f64 v[150:151], v[208:209], s[16:17], -v[152:153]
	v_fma_f64 v[152:153], v[210:211], s[20:21], v[154:155]
	v_mul_f64 v[164:165], v[206:207], s[14:15]
	v_add_f64 v[140:141], v[140:141], v[156:157]
	v_fma_f64 v[154:155], v[208:209], s[34:35], v[158:159]
	v_fma_f64 v[156:157], v[210:211], s[38:39], v[160:161]
	v_mul_f64 v[162:163], v[202:203], s[18:19]
	v_fma_f64 v[158:159], v[208:209], s[34:35], -v[158:159]
	v_add_f64 v[148:149], v[150:151], v[148:149]
	v_add_f64 v[150:151], v[152:153], v[168:169]
	v_fma_f64 v[168:169], v[210:211], s[8:9], v[164:165]
	v_fma_f64 v[160:161], v[210:211], s[30:31], v[160:161]
	v_add_f64 v[152:153], v[154:155], v[180:181]
	v_add_f64 v[154:155], v[156:157], v[190:191]
	v_fma_f64 v[166:167], v[208:209], s[14:15], v[162:163]
	v_add_f64 v[156:157], v[158:159], v[176:177]
	v_fma_f64 v[170:171], v[208:209], s[14:15], -v[162:163]
	v_fma_f64 v[172:173], v[210:211], s[18:19], v[164:165]
	v_mul_f64 v[174:175], v[202:203], s[22:23]
	v_mul_f64 v[176:177], v[206:207], s[26:27]
	v_add_f64 v[162:163], v[168:169], v[184:185]
	v_mul_f64 v[168:169], v[202:203], s[10:11]
	v_mul_f64 v[178:179], v[206:207], s[2:3]
	v_add_f64 v[158:159], v[160:161], v[188:189]
	v_add_f64 v[160:161], v[166:167], v[186:187]
	;; [unrolled: 1-line block ×4, first 2 shown]
	v_fma_f64 v[170:171], v[208:209], s[26:27], v[174:175]
	v_fma_f64 v[172:173], v[210:211], s[28:29], v[176:177]
	v_fma_f64 v[174:175], v[208:209], s[26:27], -v[174:175]
	v_fma_f64 v[176:177], v[210:211], s[22:23], v[176:177]
	v_fma_f64 v[180:181], v[208:209], s[2:3], v[168:169]
	;; [unrolled: 1-line block ×3, first 2 shown]
	v_fma_f64 v[184:185], v[208:209], s[2:3], -v[168:169]
	v_fma_f64 v[186:187], v[210:211], s[10:11], v[178:179]
	v_add_f64 v[168:169], v[170:171], v[200:201]
	v_add_f64 v[170:171], v[172:173], v[194:195]
	v_add_f64 v[172:173], v[174:175], v[196:197]
	v_add_f64 v[174:175], v[176:177], v[198:199]
	v_add_f64 v[176:177], v[180:181], v[204:205]
	v_add_f64 v[178:179], v[182:183], v[212:213]
	v_add_f64 v[180:181], v[184:185], v[214:215]
	v_add_f64 v[182:183], v[186:187], v[216:217]
	ds_write_b128 v229, v[104:107]
	ds_write_b128 v229, v[96:99] offset:32
	ds_write_b128 v229, v[108:111] offset:64
	ds_write_b128 v229, v[112:115] offset:96
	ds_write_b128 v229, v[116:119] offset:128
	ds_write_b128 v229, v[124:127] offset:160
	ds_write_b128 v229, v[128:131] offset:192
	ds_write_b128 v229, v[136:139] offset:224
	ds_write_b128 v229, v[120:123] offset:256
	ds_write_b128 v229, v[100:103] offset:288
	ds_write_b128 v229, v[92:95] offset:320
	ds_write_b128 v229, v[88:91] offset:352
	ds_write_b128 v229, v[84:87] offset:384
	ds_write_b128 v231, v[132:135]
	ds_write_b128 v231, v[0:3] offset:32
	ds_write_b128 v231, v[144:147] offset:64
	;; [unrolled: 1-line block ×12, first 2 shown]
	s_waitcnt lgkmcnt(0)
	; wave barrier
	s_waitcnt lgkmcnt(0)
	ds_read_b128 v[92:95], v228
	ds_read_b128 v[88:91], v228 offset:832
	ds_read_b128 v[0:3], v228 offset:1664
	;; [unrolled: 1-line block ×21, first 2 shown]
	buffer_load_dword v194, off, s[52:55], 0 offset:576 ; 4-byte Folded Reload
	buffer_load_dword v195, off, s[52:55], 0 offset:580 ; 4-byte Folded Reload
	;; [unrolled: 1-line block ×4, first 2 shown]
	ds_read_b128 v[168:171], v228 offset:18304
	ds_read_b128 v[180:183], v228 offset:19136
	s_waitcnt vmcnt(0) lgkmcnt(14)
	v_mul_f64 v[112:113], v[196:197], v[2:3]
	v_mul_f64 v[138:139], v[196:197], v[0:1]
	buffer_load_dword v196, off, s[52:55], 0 offset:496 ; 4-byte Folded Reload
	buffer_load_dword v197, off, s[52:55], 0 offset:500 ; 4-byte Folded Reload
	;; [unrolled: 1-line block ×4, first 2 shown]
	ds_read_b128 v[176:179], v228 offset:19968
	ds_read_b128 v[184:187], v228 offset:20800
	buffer_load_dword v200, off, s[52:55], 0 offset:464 ; 4-byte Folded Reload
	buffer_load_dword v201, off, s[52:55], 0 offset:468 ; 4-byte Folded Reload
	;; [unrolled: 1-line block ×4, first 2 shown]
	v_fma_f64 v[192:193], v[194:195], v[0:1], v[112:113]
	v_fma_f64 v[194:195], v[194:195], v[2:3], -v[138:139]
	s_waitcnt vmcnt(4)
	v_mul_f64 v[188:189], v[198:199], v[98:99]
	v_mul_f64 v[190:191], v[198:199], v[96:97]
	s_waitcnt vmcnt(0)
	v_mul_f64 v[0:1], v[202:203], v[102:103]
	v_mul_f64 v[2:3], v[202:203], v[100:101]
	buffer_load_dword v202, off, s[52:55], 0 offset:448 ; 4-byte Folded Reload
	buffer_load_dword v203, off, s[52:55], 0 offset:452 ; 4-byte Folded Reload
	;; [unrolled: 1-line block ×8, first 2 shown]
	v_fma_f64 v[188:189], v[196:197], v[96:97], v[188:189]
	v_fma_f64 v[190:191], v[196:197], v[98:99], -v[190:191]
	v_fma_f64 v[198:199], v[200:201], v[100:101], v[0:1]
	v_fma_f64 v[200:201], v[200:201], v[102:103], -v[2:3]
	s_waitcnt vmcnt(4)
	v_mul_f64 v[96:97], v[204:205], v[106:107]
	v_mul_f64 v[98:99], v[204:205], v[104:105]
	buffer_load_dword v204, off, s[52:55], 0 offset:528 ; 4-byte Folded Reload
	buffer_load_dword v205, off, s[52:55], 0 offset:532 ; 4-byte Folded Reload
	buffer_load_dword v206, off, s[52:55], 0 offset:536 ; 4-byte Folded Reload
	buffer_load_dword v207, off, s[52:55], 0 offset:540 ; 4-byte Folded Reload
	s_waitcnt vmcnt(4) lgkmcnt(14)
	v_mul_f64 v[138:139], v[210:211], v[110:111]
	v_mul_f64 v[196:197], v[210:211], v[108:109]
	v_fma_f64 v[112:113], v[202:203], v[104:105], v[96:97]
	v_fma_f64 v[202:203], v[202:203], v[106:107], -v[98:99]
	v_fma_f64 v[104:105], v[208:209], v[108:109], v[138:139]
	v_fma_f64 v[106:107], v[208:209], v[110:111], -v[196:197]
	buffer_load_dword v108, off, s[52:55], 0 offset:512 ; 4-byte Folded Reload
	buffer_load_dword v109, off, s[52:55], 0 offset:516 ; 4-byte Folded Reload
	buffer_load_dword v110, off, s[52:55], 0 offset:520 ; 4-byte Folded Reload
	buffer_load_dword v111, off, s[52:55], 0 offset:524 ; 4-byte Folded Reload
	s_waitcnt vmcnt(4) lgkmcnt(13)
	v_mul_f64 v[0:1], v[206:207], v[132:133]
	v_mul_f64 v[2:3], v[206:207], v[130:131]
	v_fma_f64 v[96:97], v[204:205], v[130:131], v[0:1]
	v_fma_f64 v[98:99], v[204:205], v[132:133], -v[2:3]
	buffer_load_dword v204, off, s[52:55], 0 offset:480 ; 4-byte Folded Reload
	buffer_load_dword v205, off, s[52:55], 0 offset:484 ; 4-byte Folded Reload
	;; [unrolled: 1-line block ×8, first 2 shown]
	s_waitcnt vmcnt(8) lgkmcnt(11)
	v_mul_f64 v[100:101], v[110:111], v[136:137]
	v_mul_f64 v[102:103], v[110:111], v[134:135]
	v_fma_f64 v[100:101], v[108:109], v[134:135], v[100:101]
	v_fma_f64 v[102:103], v[108:109], v[136:137], -v[102:103]
	s_waitcnt vmcnt(4) lgkmcnt(9)
	v_mul_f64 v[0:1], v[206:207], v[150:151]
	v_mul_f64 v[2:3], v[206:207], v[148:149]
	buffer_load_dword v206, off, s[52:55], 0 offset:592 ; 4-byte Folded Reload
	buffer_load_dword v207, off, s[52:55], 0 offset:596 ; 4-byte Folded Reload
	;; [unrolled: 1-line block ×4, first 2 shown]
	s_waitcnt vmcnt(4) lgkmcnt(7)
	v_mul_f64 v[130:131], v[212:213], v[154:155]
	v_mul_f64 v[132:133], v[212:213], v[152:153]
	v_fma_f64 v[108:109], v[204:205], v[148:149], v[0:1]
	v_fma_f64 v[110:111], v[204:205], v[150:151], -v[2:3]
	v_add_f64 v[0:1], v[92:93], v[192:193]
	v_fma_f64 v[130:131], v[210:211], v[152:153], v[130:131]
	v_fma_f64 v[132:133], v[210:211], v[154:155], -v[132:133]
	v_add_f64 v[2:3], v[94:95], v[194:195]
	v_add_f64 v[0:1], v[0:1], v[188:189]
	;; [unrolled: 1-line block ×7, first 2 shown]
	s_waitcnt vmcnt(0) lgkmcnt(5)
	v_mul_f64 v[134:135], v[208:209], v[158:159]
	v_mul_f64 v[136:137], v[208:209], v[156:157]
	v_fma_f64 v[134:135], v[206:207], v[156:157], v[134:135]
	v_fma_f64 v[196:197], v[206:207], v[158:159], -v[136:137]
	buffer_load_dword v206, off, s[52:55], 0 offset:560 ; 4-byte Folded Reload
	buffer_load_dword v207, off, s[52:55], 0 offset:564 ; 4-byte Folded Reload
	;; [unrolled: 1-line block ×12, first 2 shown]
	s_waitcnt vmcnt(8) lgkmcnt(3)
	v_mul_f64 v[136:137], v[208:209], v[170:171]
	v_mul_f64 v[138:139], v[208:209], v[168:169]
	s_waitcnt vmcnt(0)
	v_mul_f64 v[152:153], v[214:215], v[86:87]
	v_mul_f64 v[154:155], v[214:215], v[84:85]
	s_waitcnt lgkmcnt(1)
	v_mul_f64 v[148:149], v[158:159], v[178:179]
	v_mul_f64 v[150:151], v[158:159], v[176:177]
	v_fma_f64 v[204:205], v[206:207], v[168:169], v[136:137]
	v_fma_f64 v[206:207], v[206:207], v[170:171], -v[138:139]
	v_fma_f64 v[136:137], v[212:213], v[84:85], v[152:153]
	v_fma_f64 v[138:139], v[212:213], v[86:87], -v[154:155]
	buffer_load_dword v168, off, s[52:55], 0 offset:672 ; 4-byte Folded Reload
	buffer_load_dword v169, off, s[52:55], 0 offset:676 ; 4-byte Folded Reload
	;; [unrolled: 1-line block ×8, first 2 shown]
	v_fma_f64 v[208:209], v[156:157], v[176:177], v[148:149]
	v_fma_f64 v[210:211], v[156:157], v[178:179], -v[150:151]
	buffer_load_dword v156, off, s[52:55], 0 offset:640 ; 4-byte Folded Reload
	buffer_load_dword v157, off, s[52:55], 0 offset:644 ; 4-byte Folded Reload
	;; [unrolled: 1-line block ×4, first 2 shown]
	v_add_f64 v[233:234], v[190:191], -v[206:207]
	v_add_f64 v[190:191], v[190:191], v[206:207]
	v_mul_f64 v[235:236], v[190:191], s[14:15]
	s_waitcnt vmcnt(8)
	v_mul_f64 v[84:85], v[170:171], v[116:117]
	v_mul_f64 v[86:87], v[170:171], v[114:115]
	s_waitcnt vmcnt(4)
	v_mul_f64 v[148:149], v[214:215], v[120:121]
	;; [unrolled: 3-line block ×3, first 2 shown]
	v_mul_f64 v[154:155], v[158:159], v[122:123]
	v_fma_f64 v[176:177], v[168:169], v[114:115], v[84:85]
	v_fma_f64 v[178:179], v[168:169], v[116:117], -v[86:87]
	v_fma_f64 v[168:169], v[212:213], v[118:119], v[148:149]
	v_fma_f64 v[170:171], v[212:213], v[120:121], -v[150:151]
	buffer_load_dword v148, off, s[52:55], 0 offset:784 ; 4-byte Folded Reload
	buffer_load_dword v149, off, s[52:55], 0 offset:788 ; 4-byte Folded Reload
	;; [unrolled: 1-line block ×4, first 2 shown]
	v_add_f64 v[84:85], v[0:1], v[104:105]
	v_add_f64 v[86:87], v[2:3], v[106:107]
	v_fma_f64 v[0:1], v[156:157], v[122:123], v[152:153]
	v_fma_f64 v[2:3], v[156:157], v[124:125], -v[154:155]
	v_add_f64 v[84:85], v[84:85], v[96:97]
	v_add_f64 v[86:87], v[86:87], v[98:99]
	;; [unrolled: 1-line block ×14, first 2 shown]
	s_waitcnt vmcnt(0)
	v_mul_f64 v[114:115], v[150:151], v[128:129]
	v_mul_f64 v[116:117], v[150:151], v[126:127]
	buffer_load_dword v150, off, s[52:55], 0 offset:736 ; 4-byte Folded Reload
	buffer_load_dword v151, off, s[52:55], 0 offset:740 ; 4-byte Folded Reload
	buffer_load_dword v152, off, s[52:55], 0 offset:744 ; 4-byte Folded Reload
	buffer_load_dword v153, off, s[52:55], 0 offset:748 ; 4-byte Folded Reload
	buffer_load_dword v154, off, s[52:55], 0 offset:720 ; 4-byte Folded Reload
	buffer_load_dword v155, off, s[52:55], 0 offset:724 ; 4-byte Folded Reload
	buffer_load_dword v156, off, s[52:55], 0 offset:728 ; 4-byte Folded Reload
	buffer_load_dword v157, off, s[52:55], 0 offset:732 ; 4-byte Folded Reload
	v_fma_f64 v[158:159], v[148:149], v[128:129], -v[116:117]
	s_waitcnt vmcnt(4)
	v_mul_f64 v[118:119], v[152:153], v[142:143]
	v_mul_f64 v[120:121], v[152:153], v[140:141]
	s_waitcnt vmcnt(0)
	v_mul_f64 v[122:123], v[156:157], v[146:147]
	v_mul_f64 v[124:125], v[156:157], v[144:145]
	v_fma_f64 v[156:157], v[148:149], v[126:127], v[114:115]
	buffer_load_dword v126, off, s[52:55], 0 offset:704 ; 4-byte Folded Reload
	buffer_load_dword v127, off, s[52:55], 0 offset:708 ; 4-byte Folded Reload
	buffer_load_dword v128, off, s[52:55], 0 offset:712 ; 4-byte Folded Reload
	buffer_load_dword v129, off, s[52:55], 0 offset:716 ; 4-byte Folded Reload
	v_fma_f64 v[148:149], v[150:151], v[140:141], v[118:119]
	v_fma_f64 v[152:153], v[150:151], v[142:143], -v[120:121]
	v_fma_f64 v[150:151], v[154:155], v[144:145], v[122:123]
	v_fma_f64 v[154:155], v[154:155], v[146:147], -v[124:125]
	buffer_load_dword v144, off, s[52:55], 0 offset:816 ; 4-byte Folded Reload
	buffer_load_dword v145, off, s[52:55], 0 offset:820 ; 4-byte Folded Reload
	;; [unrolled: 1-line block ×12, first 2 shown]
	s_waitcnt vmcnt(12)
	v_mul_f64 v[114:115], v[128:129], v[162:163]
	v_mul_f64 v[116:117], v[128:129], v[160:161]
	s_waitcnt vmcnt(8)
	v_mul_f64 v[118:119], v[146:147], v[166:167]
	v_mul_f64 v[120:121], v[146:147], v[164:165]
	;; [unrolled: 3-line block ×3, first 2 shown]
	v_fma_f64 v[160:161], v[126:127], v[160:161], v[114:115]
	v_fma_f64 v[162:163], v[126:127], v[162:163], -v[116:117]
	v_add_f64 v[114:115], v[194:195], -v[210:211]
	v_add_f64 v[116:117], v[194:195], v[210:211]
	v_fma_f64 v[164:165], v[144:145], v[164:165], v[118:119]
	v_fma_f64 v[166:167], v[144:145], v[166:167], -v[120:121]
	buffer_load_dword v144, off, s[52:55], 0 offset:752 ; 4-byte Folded Reload
	buffer_load_dword v145, off, s[52:55], 0 offset:756 ; 4-byte Folded Reload
	;; [unrolled: 1-line block ×4, first 2 shown]
	v_fma_f64 v[172:173], v[140:141], v[172:173], v[122:123]
	v_fma_f64 v[174:175], v[140:141], v[174:175], -v[124:125]
	s_waitcnt vmcnt(4)
	v_mul_f64 v[118:119], v[214:215], v[182:183]
	v_mul_f64 v[120:121], v[214:215], v[180:181]
	v_add_f64 v[122:123], v[192:193], v[208:209]
	v_add_f64 v[124:125], v[192:193], -v[208:209]
	v_mul_f64 v[126:127], v[114:115], s[24:25]
	v_mul_f64 v[128:129], v[116:117], s[16:17]
	;; [unrolled: 1-line block ×4, first 2 shown]
	v_fma_f64 v[180:181], v[212:213], v[180:181], v[118:119]
	v_fma_f64 v[182:183], v[212:213], v[182:183], -v[120:121]
	v_mul_f64 v[212:213], v[114:115], s[22:23]
	v_mul_f64 v[218:219], v[116:117], s[34:35]
	v_fma_f64 v[118:119], v[122:123], s[16:17], v[126:127]
	v_fma_f64 v[120:121], v[124:125], s[20:21], v[128:129]
	v_fma_f64 v[126:127], v[122:123], s[16:17], -v[126:127]
	v_fma_f64 v[128:129], v[124:125], s[24:25], v[128:129]
	v_fma_f64 v[222:223], v[124:125], s[28:29], v[214:215]
	;; [unrolled: 1-line block ×4, first 2 shown]
	v_fma_f64 v[212:213], v[122:123], s[26:27], -v[212:213]
	v_fma_f64 v[224:225], v[122:123], s[34:35], v[216:217]
	v_fma_f64 v[226:227], v[124:125], s[38:39], v[218:219]
	v_fma_f64 v[206:207], v[122:123], s[34:35], -v[216:217]
	v_fma_f64 v[216:217], v[124:125], s[30:31], v[218:219]
	v_add_f64 v[218:219], v[188:189], v[204:205]
	v_add_f64 v[188:189], v[188:189], -v[204:205]
	v_mul_f64 v[204:205], v[233:234], s[8:9]
	v_add_f64 v[118:119], v[92:93], v[118:119]
	v_add_f64 v[120:121], v[94:95], v[120:121]
	v_add_f64 v[126:127], v[92:93], v[126:127]
	v_add_f64 v[128:129], v[94:95], v[128:129]
	v_add_f64 v[220:221], v[92:93], v[220:221]
	v_add_f64 v[222:223], v[94:95], v[222:223]
	v_add_f64 v[212:213], v[92:93], v[212:213]
	v_add_f64 v[214:215], v[94:95], v[214:215]
	v_add_f64 v[224:225], v[92:93], v[224:225]
	v_add_f64 v[226:227], v[94:95], v[226:227]
	s_waitcnt lgkmcnt(0)
	; wave barrier
	s_waitcnt vmcnt(0) lgkmcnt(0)
	v_mul_f64 v[140:141], v[146:147], v[186:187]
	v_mul_f64 v[142:143], v[146:147], v[184:185]
	;; [unrolled: 1-line block ×3, first 2 shown]
	v_fma_f64 v[184:185], v[144:145], v[184:185], v[140:141]
	v_fma_f64 v[186:187], v[144:145], v[186:187], -v[142:143]
	v_mul_f64 v[140:141], v[114:115], s[8:9]
	v_mul_f64 v[142:143], v[116:117], s[14:15]
	;; [unrolled: 1-line block ×5, first 2 shown]
	v_fma_f64 v[210:211], v[124:125], s[10:11], v[146:147]
	v_fma_f64 v[146:147], v[124:125], s[0:1], v[146:147]
	;; [unrolled: 1-line block ×4, first 2 shown]
	v_fma_f64 v[140:141], v[122:123], s[14:15], -v[140:141]
	v_fma_f64 v[142:143], v[124:125], s[8:9], v[142:143]
	v_fma_f64 v[208:209], v[122:123], s[2:3], v[144:145]
	v_fma_f64 v[144:145], v[122:123], s[2:3], -v[144:145]
	v_fma_f64 v[237:238], v[122:123], s[40:41], v[114:115]
	v_fma_f64 v[239:240], v[124:125], s[42:43], v[116:117]
	v_fma_f64 v[114:115], v[122:123], s[40:41], -v[114:115]
	v_fma_f64 v[116:117], v[124:125], s[36:37], v[116:117]
	v_add_f64 v[192:193], v[92:93], v[192:193]
	v_add_f64 v[194:195], v[94:95], v[194:195]
	;; [unrolled: 1-line block ×10, first 2 shown]
	v_fma_f64 v[206:207], v[218:219], s[14:15], v[204:205]
	v_fma_f64 v[216:217], v[188:189], s[18:19], v[235:236]
	v_add_f64 v[237:238], v[92:93], v[237:238]
	v_add_f64 v[239:240], v[94:95], v[239:240]
	;; [unrolled: 1-line block ×4, first 2 shown]
	v_mul_f64 v[114:115], v[233:234], s[22:23]
	v_mul_f64 v[116:117], v[190:191], s[26:27]
	v_add_f64 v[118:119], v[206:207], v[118:119]
	v_add_f64 v[120:121], v[216:217], v[120:121]
	v_fma_f64 v[204:205], v[218:219], s[14:15], -v[204:205]
	v_fma_f64 v[206:207], v[188:189], s[8:9], v[235:236]
	v_mul_f64 v[216:217], v[233:234], s[36:37]
	v_mul_f64 v[235:236], v[190:191], s[40:41]
	v_fma_f64 v[241:242], v[218:219], s[26:27], v[114:115]
	v_fma_f64 v[243:244], v[188:189], s[28:29], v[116:117]
	v_fma_f64 v[114:115], v[218:219], s[26:27], -v[114:115]
	v_fma_f64 v[116:117], v[188:189], s[22:23], v[116:117]
	v_add_f64 v[126:127], v[204:205], v[126:127]
	v_add_f64 v[128:129], v[206:207], v[128:129]
	v_fma_f64 v[204:205], v[218:219], s[40:41], v[216:217]
	v_fma_f64 v[206:207], v[188:189], s[42:43], v[235:236]
	v_add_f64 v[192:193], v[241:242], v[192:193]
	v_add_f64 v[194:195], v[243:244], v[194:195]
	;; [unrolled: 1-line block ×4, first 2 shown]
	v_mul_f64 v[140:141], v[233:234], s[38:39]
	v_mul_f64 v[142:143], v[190:191], s[34:35]
	v_add_f64 v[204:205], v[204:205], v[208:209]
	v_add_f64 v[206:207], v[206:207], v[210:211]
	v_mul_f64 v[208:209], v[233:234], s[10:11]
	v_mul_f64 v[210:211], v[190:191], s[2:3]
	v_fma_f64 v[216:217], v[218:219], s[40:41], -v[216:217]
	v_fma_f64 v[235:236], v[188:189], s[36:37], v[235:236]
	v_fma_f64 v[241:242], v[218:219], s[34:35], v[140:141]
	;; [unrolled: 1-line block ×3, first 2 shown]
	v_fma_f64 v[140:141], v[218:219], s[34:35], -v[140:141]
	v_fma_f64 v[142:143], v[188:189], s[38:39], v[142:143]
	v_fma_f64 v[245:246], v[218:219], s[2:3], v[208:209]
	;; [unrolled: 1-line block ×3, first 2 shown]
	v_add_f64 v[144:145], v[216:217], v[144:145]
	v_mul_f64 v[190:191], v[190:191], s[16:17]
	v_add_f64 v[216:217], v[241:242], v[220:221]
	v_add_f64 v[220:221], v[243:244], v[222:223]
	v_add_f64 v[222:223], v[200:201], -v[196:197]
	v_add_f64 v[196:197], v[200:201], v[196:197]
	v_add_f64 v[140:141], v[140:141], v[212:213]
	v_add_f64 v[142:143], v[142:143], v[214:215]
	v_add_f64 v[212:213], v[245:246], v[224:225]
	v_add_f64 v[214:215], v[247:248], v[226:227]
	v_fma_f64 v[208:209], v[218:219], s[2:3], -v[208:209]
	v_add_f64 v[224:225], v[198:199], v[134:135]
	v_add_f64 v[134:135], v[198:199], -v[134:135]
	v_mul_f64 v[198:199], v[222:223], s[0:1]
	v_mul_f64 v[226:227], v[196:197], s[2:3]
	v_add_f64 v[146:147], v[235:236], v[146:147]
	v_mul_f64 v[200:201], v[233:234], s[20:21]
	v_fma_f64 v[210:211], v[188:189], s[10:11], v[210:211]
	v_fma_f64 v[235:236], v[188:189], s[24:25], v[190:191]
	v_fma_f64 v[188:189], v[188:189], s[20:21], v[190:191]
	v_add_f64 v[122:123], v[208:209], v[122:123]
	v_fma_f64 v[190:191], v[224:225], s[2:3], v[198:199]
	v_fma_f64 v[208:209], v[134:135], s[10:11], v[226:227]
	;; [unrolled: 1-line block ×3, first 2 shown]
	v_fma_f64 v[200:201], v[218:219], s[16:17], -v[200:201]
	v_add_f64 v[124:125], v[210:211], v[124:125]
	v_add_f64 v[94:95], v[188:189], v[94:95]
	v_mul_f64 v[188:189], v[222:223], s[36:37]
	v_add_f64 v[118:119], v[190:191], v[118:119]
	v_add_f64 v[120:121], v[208:209], v[120:121]
	v_fma_f64 v[190:191], v[224:225], s[2:3], -v[198:199]
	v_mul_f64 v[208:209], v[222:223], s[28:29]
	v_add_f64 v[210:211], v[233:234], v[237:238]
	v_add_f64 v[92:93], v[200:201], v[92:93]
	v_mul_f64 v[200:201], v[196:197], s[40:41]
	v_fma_f64 v[198:199], v[134:135], s[0:1], v[226:227]
	v_mul_f64 v[226:227], v[196:197], s[26:27]
	v_fma_f64 v[233:234], v[224:225], s[40:41], v[188:189]
	v_fma_f64 v[188:189], v[224:225], s[40:41], -v[188:189]
	v_add_f64 v[126:127], v[190:191], v[126:127]
	v_fma_f64 v[190:191], v[224:225], s[26:27], v[208:209]
	v_add_f64 v[218:219], v[235:236], v[239:240]
	v_fma_f64 v[235:236], v[134:135], s[42:43], v[200:201]
	v_fma_f64 v[200:201], v[134:135], s[36:37], v[200:201]
	v_add_f64 v[128:129], v[198:199], v[128:129]
	v_fma_f64 v[198:199], v[134:135], s[22:23], v[226:227]
	v_add_f64 v[114:115], v[188:189], v[114:115]
	v_mul_f64 v[188:189], v[222:223], s[20:21]
	v_add_f64 v[190:191], v[190:191], v[204:205]
	v_mul_f64 v[204:205], v[222:223], s[8:9]
	v_add_f64 v[192:193], v[233:234], v[192:193]
	v_add_f64 v[116:117], v[200:201], v[116:117]
	v_mul_f64 v[200:201], v[196:197], s[16:17]
	v_add_f64 v[198:199], v[198:199], v[206:207]
	v_mul_f64 v[206:207], v[196:197], s[14:15]
	v_fma_f64 v[233:234], v[224:225], s[16:17], v[188:189]
	v_fma_f64 v[188:189], v[224:225], s[16:17], -v[188:189]
	v_fma_f64 v[237:238], v[224:225], s[14:15], v[204:205]
	v_add_f64 v[194:195], v[235:236], v[194:195]
	v_fma_f64 v[208:209], v[224:225], s[26:27], -v[208:209]
	v_fma_f64 v[235:236], v[134:135], s[24:25], v[200:201]
	v_fma_f64 v[200:201], v[134:135], s[20:21], v[200:201]
	;; [unrolled: 1-line block ×4, first 2 shown]
	v_add_f64 v[140:141], v[188:189], v[140:141]
	v_add_f64 v[188:189], v[237:238], v[212:213]
	v_add_f64 v[212:213], v[202:203], -v[132:133]
	v_add_f64 v[132:133], v[202:203], v[132:133]
	v_add_f64 v[144:145], v[208:209], v[144:145]
	;; [unrolled: 1-line block ×6, first 2 shown]
	v_mul_f64 v[202:203], v[222:223], s[30:31]
	v_mul_f64 v[196:197], v[196:197], s[34:35]
	v_fma_f64 v[204:205], v[224:225], s[14:15], -v[204:205]
	v_add_f64 v[214:215], v[112:113], v[130:131]
	v_add_f64 v[112:113], v[112:113], -v[130:131]
	v_mul_f64 v[130:131], v[212:213], s[22:23]
	v_mul_f64 v[220:221], v[132:133], s[26:27]
	v_add_f64 v[146:147], v[226:227], v[146:147]
	v_fma_f64 v[206:207], v[134:135], s[8:9], v[206:207]
	v_fma_f64 v[222:223], v[224:225], s[34:35], v[202:203]
	;; [unrolled: 1-line block ×3, first 2 shown]
	v_fma_f64 v[202:203], v[224:225], s[34:35], -v[202:203]
	v_fma_f64 v[134:135], v[134:135], s[30:31], v[196:197]
	v_add_f64 v[122:123], v[204:205], v[122:123]
	v_fma_f64 v[196:197], v[214:215], s[26:27], v[130:131]
	v_fma_f64 v[204:205], v[112:113], s[28:29], v[220:221]
	v_add_f64 v[124:125], v[206:207], v[124:125]
	v_add_f64 v[206:207], v[222:223], v[210:211]
	;; [unrolled: 1-line block ×5, first 2 shown]
	v_mul_f64 v[134:135], v[212:213], s[38:39]
	v_mul_f64 v[202:203], v[132:133], s[34:35]
	v_add_f64 v[118:119], v[196:197], v[118:119]
	v_add_f64 v[120:121], v[204:205], v[120:121]
	v_fma_f64 v[130:131], v[214:215], s[26:27], -v[130:131]
	v_fma_f64 v[196:197], v[112:113], s[22:23], v[220:221]
	v_mul_f64 v[204:205], v[212:213], s[20:21]
	v_mul_f64 v[218:219], v[132:133], s[16:17]
	v_fma_f64 v[220:221], v[214:215], s[34:35], v[134:135]
	v_fma_f64 v[222:223], v[112:113], s[30:31], v[202:203]
	v_fma_f64 v[134:135], v[214:215], s[34:35], -v[134:135]
	v_fma_f64 v[202:203], v[112:113], s[38:39], v[202:203]
	v_add_f64 v[126:127], v[130:131], v[126:127]
	v_add_f64 v[128:129], v[196:197], v[128:129]
	v_fma_f64 v[130:131], v[214:215], s[16:17], v[204:205]
	v_fma_f64 v[196:197], v[112:113], s[24:25], v[218:219]
	v_add_f64 v[192:193], v[220:221], v[192:193]
	v_add_f64 v[194:195], v[222:223], v[194:195]
	;; [unrolled: 1-line block ×4, first 2 shown]
	v_mul_f64 v[134:135], v[212:213], s[0:1]
	v_mul_f64 v[202:203], v[132:133], s[2:3]
	v_add_f64 v[130:131], v[130:131], v[190:191]
	v_add_f64 v[190:191], v[196:197], v[198:199]
	v_fma_f64 v[196:197], v[214:215], s[16:17], -v[204:205]
	v_fma_f64 v[198:199], v[112:113], s[20:21], v[218:219]
	v_mul_f64 v[204:205], v[212:213], s[42:43]
	v_mul_f64 v[218:219], v[132:133], s[40:41]
	v_fma_f64 v[220:221], v[214:215], s[2:3], v[134:135]
	v_fma_f64 v[222:223], v[112:113], s[10:11], v[202:203]
	v_fma_f64 v[134:135], v[214:215], s[2:3], -v[134:135]
	v_fma_f64 v[202:203], v[112:113], s[0:1], v[202:203]
	v_add_f64 v[144:145], v[196:197], v[144:145]
	v_add_f64 v[146:147], v[198:199], v[146:147]
	v_fma_f64 v[196:197], v[214:215], s[40:41], v[204:205]
	v_fma_f64 v[198:199], v[112:113], s[36:37], v[218:219]
	v_mul_f64 v[132:133], v[132:133], s[14:15]
	v_add_f64 v[208:209], v[220:221], v[208:209]
	v_add_f64 v[134:135], v[134:135], v[140:141]
	v_add_f64 v[140:141], v[202:203], v[142:143]
	v_mul_f64 v[142:143], v[212:213], s[18:19]
	v_add_f64 v[212:213], v[104:105], v[108:109]
	v_add_f64 v[188:189], v[196:197], v[188:189]
	;; [unrolled: 1-line block ×3, first 2 shown]
	v_add_f64 v[198:199], v[106:107], -v[110:111]
	v_add_f64 v[106:107], v[106:107], v[110:111]
	v_fma_f64 v[110:111], v[214:215], s[40:41], -v[204:205]
	v_fma_f64 v[200:201], v[112:113], s[42:43], v[218:219]
	v_fma_f64 v[202:203], v[214:215], s[14:15], v[142:143]
	;; [unrolled: 1-line block ×3, first 2 shown]
	v_add_f64 v[104:105], v[104:105], -v[108:109]
	v_fma_f64 v[112:113], v[112:113], s[18:19], v[132:133]
	v_mul_f64 v[108:109], v[198:199], s[30:31]
	v_mul_f64 v[218:219], v[106:107], s[34:35]
	v_add_f64 v[110:111], v[110:111], v[122:123]
	v_add_f64 v[122:123], v[200:201], v[124:125]
	v_fma_f64 v[124:125], v[214:215], s[14:15], -v[142:143]
	v_add_f64 v[132:133], v[202:203], v[206:207]
	v_add_f64 v[142:143], v[204:205], v[210:211]
	v_mul_f64 v[204:205], v[198:199], s[10:11]
	v_fma_f64 v[200:201], v[212:213], s[34:35], v[108:109]
	v_fma_f64 v[202:203], v[104:105], s[38:39], v[218:219]
	v_fma_f64 v[108:109], v[212:213], s[34:35], -v[108:109]
	v_mul_f64 v[206:207], v[106:107], s[2:3]
	v_add_f64 v[94:95], v[112:113], v[94:95]
	v_fma_f64 v[112:113], v[104:105], s[30:31], v[218:219]
	v_add_f64 v[92:93], v[124:125], v[92:93]
	v_fma_f64 v[124:125], v[212:213], s[2:3], v[204:205]
	v_add_f64 v[118:119], v[200:201], v[118:119]
	v_add_f64 v[120:121], v[202:203], v[120:121]
	v_mul_f64 v[202:203], v[198:199], s[8:9]
	v_add_f64 v[126:127], v[108:109], v[126:127]
	v_fma_f64 v[108:109], v[212:213], s[2:3], -v[204:205]
	v_fma_f64 v[200:201], v[104:105], s[0:1], v[206:207]
	v_mul_f64 v[210:211], v[106:107], s[14:15]
	v_add_f64 v[112:113], v[112:113], v[128:129]
	v_fma_f64 v[128:129], v[104:105], s[10:11], v[206:207]
	v_mul_f64 v[204:205], v[198:199], s[42:43]
	v_add_f64 v[124:125], v[124:125], v[192:193]
	v_mul_f64 v[206:207], v[106:107], s[40:41]
	v_add_f64 v[114:115], v[108:109], v[114:115]
	v_fma_f64 v[108:109], v[212:213], s[14:15], -v[202:203]
	v_add_f64 v[192:193], v[200:201], v[194:195]
	v_fma_f64 v[194:195], v[212:213], s[14:15], v[202:203]
	v_fma_f64 v[200:201], v[104:105], s[18:19], v[210:211]
	v_add_f64 v[128:129], v[128:129], v[116:117]
	v_fma_f64 v[116:117], v[104:105], s[8:9], v[210:211]
	v_mul_f64 v[202:203], v[198:199], s[20:21]
	v_mul_f64 v[210:211], v[106:107], s[16:17]
	v_add_f64 v[144:145], v[108:109], v[144:145]
	v_fma_f64 v[108:109], v[212:213], s[40:41], -v[204:205]
	v_add_f64 v[130:131], v[194:195], v[130:131]
	v_add_f64 v[190:191], v[200:201], v[190:191]
	v_fma_f64 v[194:195], v[212:213], s[40:41], v[204:205]
	v_fma_f64 v[200:201], v[104:105], s[36:37], v[206:207]
	v_add_f64 v[146:147], v[116:117], v[146:147]
	v_fma_f64 v[116:117], v[104:105], s[42:43], v[206:207]
	v_fma_f64 v[204:205], v[212:213], s[16:17], v[202:203]
	;; [unrolled: 1-line block ×3, first 2 shown]
	v_add_f64 v[134:135], v[108:109], v[134:135]
	v_mul_f64 v[108:109], v[198:199], s[22:23]
	v_add_f64 v[194:195], v[194:195], v[208:209]
	v_fma_f64 v[202:203], v[212:213], s[16:17], -v[202:203]
	v_fma_f64 v[208:209], v[104:105], s[20:21], v[210:211]
	v_mul_f64 v[106:107], v[106:107], s[26:27]
	v_add_f64 v[188:189], v[204:205], v[188:189]
	v_add_f64 v[196:197], v[206:207], v[196:197]
	v_add_f64 v[204:205], v[98:99], -v[102:103]
	v_add_f64 v[206:207], v[98:99], v[102:103]
	v_fma_f64 v[98:99], v[212:213], s[26:27], v[108:109]
	v_add_f64 v[198:199], v[202:203], v[110:111]
	v_add_f64 v[202:203], v[208:209], v[122:123]
	v_fma_f64 v[102:103], v[104:105], s[28:29], v[106:107]
	v_fma_f64 v[108:109], v[212:213], s[26:27], -v[108:109]
	v_fma_f64 v[104:105], v[104:105], s[22:23], v[106:107]
	v_add_f64 v[208:209], v[96:97], v[100:101]
	v_add_f64 v[210:211], v[96:97], -v[100:101]
	v_mul_f64 v[96:97], v[204:205], s[36:37]
	v_mul_f64 v[100:101], v[206:207], s[40:41]
	v_add_f64 v[212:213], v[98:99], v[132:133]
	v_add_f64 v[98:99], v[88:89], v[136:137]
	;; [unrolled: 1-line block ×5, first 2 shown]
	v_mul_f64 v[122:123], v[206:207], s[16:17]
	v_fma_f64 v[104:105], v[208:209], s[40:41], v[96:97]
	v_fma_f64 v[106:107], v[210:211], s[42:43], v[100:101]
	v_add_f64 v[140:141], v[116:117], v[140:141]
	v_add_f64 v[132:133], v[98:99], v[176:177]
	;; [unrolled: 1-line block ×3, first 2 shown]
	v_fma_f64 v[100:101], v[210:211], s[36:37], v[100:101]
	v_mul_f64 v[116:117], v[204:205], s[20:21]
	v_add_f64 v[102:103], v[102:103], v[178:179]
	v_add_f64 v[108:109], v[104:105], v[118:119]
	;; [unrolled: 1-line block ×3, first 2 shown]
	v_fma_f64 v[104:105], v[210:211], s[24:25], v[122:123]
	v_add_f64 v[106:107], v[132:133], v[168:169]
	v_fma_f64 v[96:97], v[208:209], s[40:41], -v[96:97]
	v_add_f64 v[98:99], v[100:101], v[112:113]
	v_fma_f64 v[100:101], v[208:209], s[16:17], v[116:117]
	v_add_f64 v[102:103], v[102:103], v[170:171]
	v_fma_f64 v[112:113], v[208:209], s[16:17], -v[116:117]
	v_fma_f64 v[120:121], v[210:211], s[20:21], v[122:123]
	v_mul_f64 v[122:123], v[204:205], s[30:31]
	v_add_f64 v[118:119], v[104:105], v[192:193]
	v_add_f64 v[104:105], v[106:107], v[0:1]
	;; [unrolled: 1-line block ×3, first 2 shown]
	v_mul_f64 v[126:127], v[206:207], s[34:35]
	v_add_f64 v[116:117], v[100:101], v[124:125]
	v_add_f64 v[106:107], v[102:103], v[2:3]
	v_add_f64 v[100:101], v[112:113], v[114:115]
	v_add_f64 v[102:103], v[120:121], v[128:129]
	v_fma_f64 v[112:113], v[208:209], s[34:35], v[122:123]
	v_add_f64 v[128:129], v[104:105], v[156:157]
	v_fma_f64 v[124:125], v[208:209], s[34:35], -v[122:123]
	v_fma_f64 v[114:115], v[210:211], s[38:39], v[126:127]
	v_fma_f64 v[126:127], v[210:211], s[30:31], v[126:127]
	v_add_f64 v[132:133], v[106:107], v[158:159]
	v_mul_f64 v[192:193], v[204:205], s[18:19]
	v_mul_f64 v[214:215], v[206:207], s[14:15]
	v_add_f64 v[120:121], v[112:113], v[130:131]
	v_add_f64 v[112:113], v[128:129], v[148:149]
	;; [unrolled: 1-line block ×7, first 2 shown]
	v_fma_f64 v[124:125], v[208:209], s[14:15], v[192:193]
	v_mul_f64 v[132:133], v[204:205], s[22:23]
	v_fma_f64 v[146:147], v[208:209], s[14:15], -v[192:193]
	v_fma_f64 v[190:191], v[210:211], s[18:19], v[214:215]
	v_add_f64 v[192:193], v[112:113], v[150:151]
	v_add_f64 v[200:201], v[200:201], v[216:217]
	v_fma_f64 v[126:127], v[210:211], s[8:9], v[214:215]
	v_mul_f64 v[144:145], v[206:207], s[26:27]
	v_add_f64 v[214:215], v[114:115], v[154:155]
	v_add_f64 v[128:129], v[124:125], v[194:195]
	v_fma_f64 v[124:125], v[208:209], s[26:27], v[132:133]
	v_add_f64 v[114:115], v[190:191], v[140:141]
	v_add_f64 v[140:141], v[192:193], v[160:161]
	v_fma_f64 v[190:191], v[208:209], s[26:27], -v[132:133]
	v_add_f64 v[130:131], v[126:127], v[200:201]
	v_fma_f64 v[126:127], v[210:211], s[28:29], v[144:145]
	v_add_f64 v[112:113], v[146:147], v[134:135]
	v_add_f64 v[146:147], v[214:215], v[162:163]
	v_fma_f64 v[144:145], v[210:211], s[22:23], v[144:145]
	v_add_f64 v[132:133], v[124:125], v[188:189]
	v_mul_f64 v[192:193], v[206:207], s[2:3]
	v_add_f64 v[140:141], v[140:141], v[164:165]
	v_add_f64 v[124:125], v[190:191], v[198:199]
	v_add_f64 v[190:191], v[138:139], -v[186:187]
	v_add_f64 v[134:135], v[126:127], v[196:197]
	v_mul_f64 v[188:189], v[204:205], s[10:11]
	v_add_f64 v[146:147], v[146:147], v[166:167]
	v_add_f64 v[126:127], v[144:145], v[202:203]
	;; [unrolled: 1-line block ×3, first 2 shown]
	v_fma_f64 v[196:197], v[210:211], s[0:1], v[192:193]
	v_add_f64 v[140:141], v[140:141], v[172:173]
	v_add_f64 v[198:199], v[136:137], v[184:185]
	v_mul_f64 v[202:203], v[190:191], s[24:25]
	v_fma_f64 v[138:139], v[208:209], s[2:3], v[188:189]
	v_add_f64 v[144:145], v[146:147], v[174:175]
	v_add_f64 v[200:201], v[136:137], -v[184:185]
	v_mul_f64 v[204:205], v[194:195], s[16:17]
	v_fma_f64 v[136:137], v[208:209], s[2:3], -v[188:189]
	v_fma_f64 v[188:189], v[210:211], s[10:11], v[192:193]
	v_add_f64 v[192:193], v[140:141], v[180:181]
	v_add_f64 v[146:147], v[196:197], v[142:143]
	v_fma_f64 v[196:197], v[198:199], s[16:17], v[202:203]
	v_add_f64 v[206:207], v[144:145], v[182:183]
	v_add_f64 v[144:145], v[138:139], v[212:213]
	;; [unrolled: 3-line block ×3, first 2 shown]
	v_add_f64 v[136:137], v[192:193], v[184:185]
	v_mul_f64 v[92:93], v[190:191], s[8:9]
	v_mul_f64 v[94:95], v[194:195], s[14:15]
	v_add_f64 v[184:185], v[88:89], v[196:197]
	v_fma_f64 v[188:189], v[198:199], s[16:17], -v[202:203]
	v_mul_f64 v[196:197], v[190:191], s[0:1]
	v_mul_f64 v[202:203], v[194:195], s[2:3]
	;; [unrolled: 1-line block ×6, first 2 shown]
	v_add_f64 v[233:234], v[178:179], -v[182:183]
	v_add_f64 v[178:179], v[178:179], v[182:183]
	v_mul_f64 v[182:183], v[190:191], s[36:37]
	v_mul_f64 v[190:191], v[194:195], s[40:41]
	v_add_f64 v[138:139], v[206:207], v[186:187]
	v_add_f64 v[186:187], v[90:91], v[208:209]
	v_fma_f64 v[192:193], v[200:201], s[24:25], v[204:205]
	v_fma_f64 v[204:205], v[198:199], s[14:15], v[92:93]
	v_fma_f64 v[206:207], v[200:201], s[18:19], v[94:95]
	v_fma_f64 v[92:93], v[198:199], s[14:15], -v[92:93]
	v_fma_f64 v[94:95], v[200:201], s[8:9], v[94:95]
	v_fma_f64 v[208:209], v[198:199], s[2:3], v[196:197]
	v_fma_f64 v[210:211], v[200:201], s[10:11], v[202:203]
	v_fma_f64 v[196:197], v[198:199], s[2:3], -v[196:197]
	v_fma_f64 v[202:203], v[200:201], s[0:1], v[202:203]
	v_fma_f64 v[220:221], v[198:199], s[26:27], v[212:213]
	v_fma_f64 v[222:223], v[200:201], s[28:29], v[214:215]
	v_fma_f64 v[212:213], v[198:199], s[26:27], -v[212:213]
	v_fma_f64 v[214:215], v[200:201], s[22:23], v[214:215]
	v_fma_f64 v[224:225], v[198:199], s[34:35], v[216:217]
	v_fma_f64 v[226:227], v[200:201], s[38:39], v[218:219]
	v_fma_f64 v[194:195], v[198:199], s[34:35], -v[216:217]
	v_fma_f64 v[216:217], v[200:201], s[30:31], v[218:219]
	v_add_f64 v[218:219], v[176:177], v[180:181]
	v_add_f64 v[176:177], v[176:177], -v[180:181]
	v_mul_f64 v[180:181], v[233:234], s[8:9]
	v_mul_f64 v[235:236], v[178:179], s[14:15]
	v_fma_f64 v[237:238], v[198:199], s[40:41], v[182:183]
	v_fma_f64 v[239:240], v[200:201], s[42:43], v[190:191]
	v_fma_f64 v[182:183], v[198:199], s[40:41], -v[182:183]
	v_fma_f64 v[190:191], v[200:201], s[36:37], v[190:191]
	v_add_f64 v[188:189], v[88:89], v[188:189]
	v_add_f64 v[192:193], v[90:91], v[192:193]
	;; [unrolled: 1-line block ×18, first 2 shown]
	v_fma_f64 v[200:201], v[218:219], s[14:15], v[180:181]
	v_fma_f64 v[216:217], v[176:177], s[18:19], v[235:236]
	v_add_f64 v[237:238], v[88:89], v[237:238]
	v_add_f64 v[239:240], v[90:91], v[239:240]
	;; [unrolled: 1-line block ×4, first 2 shown]
	v_mul_f64 v[182:183], v[233:234], s[22:23]
	v_mul_f64 v[190:191], v[178:179], s[26:27]
	v_add_f64 v[184:185], v[200:201], v[184:185]
	v_add_f64 v[186:187], v[216:217], v[186:187]
	v_fma_f64 v[180:181], v[218:219], s[14:15], -v[180:181]
	v_fma_f64 v[200:201], v[176:177], s[8:9], v[235:236]
	v_mul_f64 v[216:217], v[233:234], s[36:37]
	v_mul_f64 v[235:236], v[178:179], s[40:41]
	v_fma_f64 v[241:242], v[218:219], s[26:27], v[182:183]
	v_fma_f64 v[243:244], v[176:177], s[28:29], v[190:191]
	v_fma_f64 v[182:183], v[218:219], s[26:27], -v[182:183]
	v_fma_f64 v[190:191], v[176:177], s[22:23], v[190:191]
	v_add_f64 v[180:181], v[180:181], v[188:189]
	v_add_f64 v[188:189], v[200:201], v[192:193]
	v_fma_f64 v[192:193], v[218:219], s[40:41], v[216:217]
	v_fma_f64 v[200:201], v[176:177], s[42:43], v[235:236]
	v_add_f64 v[204:205], v[241:242], v[204:205]
	v_add_f64 v[206:207], v[243:244], v[206:207]
	v_add_f64 v[92:93], v[182:183], v[92:93]
	v_add_f64 v[94:95], v[190:191], v[94:95]
	v_mul_f64 v[182:183], v[233:234], s[38:39]
	v_mul_f64 v[190:191], v[178:179], s[34:35]
	v_add_f64 v[192:193], v[192:193], v[208:209]
	v_add_f64 v[200:201], v[200:201], v[210:211]
	v_mul_f64 v[208:209], v[233:234], s[10:11]
	v_mul_f64 v[210:211], v[178:179], s[2:3]
	v_fma_f64 v[216:217], v[218:219], s[40:41], -v[216:217]
	v_fma_f64 v[235:236], v[176:177], s[36:37], v[235:236]
	v_fma_f64 v[241:242], v[218:219], s[34:35], v[182:183]
	;; [unrolled: 1-line block ×3, first 2 shown]
	v_fma_f64 v[182:183], v[218:219], s[34:35], -v[182:183]
	v_fma_f64 v[190:191], v[176:177], s[38:39], v[190:191]
	v_fma_f64 v[245:246], v[218:219], s[2:3], v[208:209]
	;; [unrolled: 1-line block ×3, first 2 shown]
	v_add_f64 v[196:197], v[216:217], v[196:197]
	v_mul_f64 v[178:179], v[178:179], s[16:17]
	v_add_f64 v[216:217], v[241:242], v[220:221]
	v_add_f64 v[220:221], v[243:244], v[222:223]
	v_add_f64 v[222:223], v[170:171], -v[174:175]
	v_add_f64 v[170:171], v[170:171], v[174:175]
	v_add_f64 v[182:183], v[182:183], v[212:213]
	;; [unrolled: 1-line block ×5, first 2 shown]
	v_mul_f64 v[174:175], v[233:234], s[20:21]
	v_fma_f64 v[208:209], v[218:219], s[2:3], -v[208:209]
	v_fma_f64 v[210:211], v[176:177], s[10:11], v[210:211]
	v_add_f64 v[224:225], v[168:169], v[172:173]
	v_add_f64 v[168:169], v[168:169], -v[172:173]
	v_mul_f64 v[172:173], v[222:223], s[0:1]
	v_mul_f64 v[226:227], v[170:171], s[2:3]
	v_add_f64 v[202:203], v[235:236], v[202:203]
	v_fma_f64 v[233:234], v[218:219], s[16:17], v[174:175]
	v_fma_f64 v[235:236], v[176:177], s[24:25], v[178:179]
	v_fma_f64 v[174:175], v[218:219], s[16:17], -v[174:175]
	v_fma_f64 v[176:177], v[176:177], s[20:21], v[178:179]
	v_add_f64 v[178:179], v[208:209], v[194:195]
	v_add_f64 v[194:195], v[210:211], v[198:199]
	v_fma_f64 v[198:199], v[224:225], s[2:3], v[172:173]
	v_fma_f64 v[208:209], v[168:169], s[10:11], v[226:227]
	v_fma_f64 v[172:173], v[224:225], s[2:3], -v[172:173]
	v_add_f64 v[210:211], v[233:234], v[237:238]
	v_add_f64 v[88:89], v[174:175], v[88:89]
	v_mul_f64 v[174:175], v[222:223], s[36:37]
	v_add_f64 v[90:91], v[176:177], v[90:91]
	v_mul_f64 v[176:177], v[170:171], s[40:41]
	v_add_f64 v[184:185], v[198:199], v[184:185]
	v_add_f64 v[186:187], v[208:209], v[186:187]
	v_fma_f64 v[198:199], v[168:169], s[0:1], v[226:227]
	v_mul_f64 v[208:209], v[222:223], s[28:29]
	v_mul_f64 v[226:227], v[170:171], s[26:27]
	v_fma_f64 v[233:234], v[224:225], s[40:41], v[174:175]
	v_fma_f64 v[174:175], v[224:225], s[40:41], -v[174:175]
	v_add_f64 v[172:173], v[172:173], v[180:181]
	v_add_f64 v[218:219], v[235:236], v[239:240]
	v_fma_f64 v[235:236], v[168:169], s[42:43], v[176:177]
	v_add_f64 v[180:181], v[198:199], v[188:189]
	v_fma_f64 v[188:189], v[224:225], s[26:27], v[208:209]
	v_fma_f64 v[198:199], v[168:169], s[22:23], v[226:227]
	v_fma_f64 v[176:177], v[168:169], s[36:37], v[176:177]
	v_add_f64 v[92:93], v[174:175], v[92:93]
	v_mul_f64 v[174:175], v[222:223], s[20:21]
	v_add_f64 v[204:205], v[233:234], v[204:205]
	v_add_f64 v[206:207], v[235:236], v[206:207]
	v_fma_f64 v[208:209], v[224:225], s[26:27], -v[208:209]
	v_add_f64 v[188:189], v[188:189], v[192:193]
	v_add_f64 v[192:193], v[198:199], v[200:201]
	v_mul_f64 v[198:199], v[222:223], s[8:9]
	v_add_f64 v[94:95], v[176:177], v[94:95]
	v_mul_f64 v[176:177], v[170:171], s[16:17]
	v_mul_f64 v[200:201], v[170:171], s[14:15]
	v_fma_f64 v[233:234], v[224:225], s[16:17], v[174:175]
	v_fma_f64 v[174:175], v[224:225], s[16:17], -v[174:175]
	v_fma_f64 v[226:227], v[168:169], s[28:29], v[226:227]
	v_add_f64 v[196:197], v[208:209], v[196:197]
	v_fma_f64 v[237:238], v[224:225], s[14:15], v[198:199]
	v_mul_f64 v[170:171], v[170:171], s[34:35]
	v_fma_f64 v[235:236], v[168:169], s[24:25], v[176:177]
	v_fma_f64 v[176:177], v[168:169], s[20:21], v[176:177]
	;; [unrolled: 1-line block ×3, first 2 shown]
	v_add_f64 v[174:175], v[174:175], v[182:183]
	v_add_f64 v[208:209], v[233:234], v[216:217]
	v_fma_f64 v[198:199], v[224:225], s[14:15], -v[198:199]
	v_add_f64 v[182:183], v[237:238], v[212:213]
	v_add_f64 v[212:213], v[2:3], -v[166:167]
	v_add_f64 v[2:3], v[2:3], v[166:167]
	v_add_f64 v[216:217], v[235:236], v[220:221]
	;; [unrolled: 1-line block ×4, first 2 shown]
	v_mul_f64 v[166:167], v[222:223], s[30:31]
	v_fma_f64 v[200:201], v[168:169], s[8:9], v[200:201]
	v_add_f64 v[214:215], v[0:1], v[164:165]
	v_add_f64 v[0:1], v[0:1], -v[164:165]
	v_mul_f64 v[164:165], v[212:213], s[22:23]
	v_mul_f64 v[220:221], v[2:3], s[26:27]
	v_add_f64 v[202:203], v[226:227], v[202:203]
	v_fma_f64 v[226:227], v[168:169], s[38:39], v[170:171]
	v_fma_f64 v[222:223], v[224:225], s[34:35], v[166:167]
	v_fma_f64 v[166:167], v[224:225], s[34:35], -v[166:167]
	v_fma_f64 v[168:169], v[168:169], s[30:31], v[170:171]
	v_add_f64 v[170:171], v[198:199], v[178:179]
	v_add_f64 v[178:179], v[200:201], v[194:195]
	v_fma_f64 v[194:195], v[214:215], s[26:27], v[164:165]
	v_fma_f64 v[198:199], v[0:1], s[28:29], v[220:221]
	v_fma_f64 v[164:165], v[214:215], s[26:27], -v[164:165]
	v_add_f64 v[200:201], v[222:223], v[210:211]
	v_add_f64 v[210:211], v[226:227], v[218:219]
	v_add_f64 v[88:89], v[166:167], v[88:89]
	v_add_f64 v[90:91], v[168:169], v[90:91]
	v_mul_f64 v[166:167], v[212:213], s[38:39]
	v_mul_f64 v[168:169], v[2:3], s[34:35]
	v_add_f64 v[184:185], v[194:195], v[184:185]
	v_add_f64 v[186:187], v[198:199], v[186:187]
	v_fma_f64 v[194:195], v[0:1], s[22:23], v[220:221]
	v_mul_f64 v[198:199], v[212:213], s[20:21]
	v_mul_f64 v[218:219], v[2:3], s[16:17]
	v_add_f64 v[164:165], v[164:165], v[172:173]
	v_fma_f64 v[220:221], v[214:215], s[34:35], v[166:167]
	v_fma_f64 v[222:223], v[0:1], s[30:31], v[168:169]
	v_fma_f64 v[166:167], v[214:215], s[34:35], -v[166:167]
	v_fma_f64 v[168:169], v[0:1], s[38:39], v[168:169]
	v_add_f64 v[172:173], v[194:195], v[180:181]
	v_fma_f64 v[180:181], v[214:215], s[16:17], v[198:199]
	v_fma_f64 v[194:195], v[0:1], s[24:25], v[218:219]
	v_add_f64 v[204:205], v[220:221], v[204:205]
	v_add_f64 v[206:207], v[222:223], v[206:207]
	;; [unrolled: 1-line block ×4, first 2 shown]
	v_mul_f64 v[166:167], v[212:213], s[0:1]
	v_mul_f64 v[168:169], v[2:3], s[2:3]
	v_add_f64 v[180:181], v[180:181], v[188:189]
	v_add_f64 v[188:189], v[194:195], v[192:193]
	v_fma_f64 v[192:193], v[214:215], s[16:17], -v[198:199]
	v_fma_f64 v[194:195], v[0:1], s[20:21], v[218:219]
	v_mul_f64 v[198:199], v[212:213], s[42:43]
	v_mul_f64 v[218:219], v[2:3], s[40:41]
	v_fma_f64 v[220:221], v[214:215], s[2:3], v[166:167]
	v_fma_f64 v[222:223], v[0:1], s[10:11], v[168:169]
	v_fma_f64 v[166:167], v[214:215], s[2:3], -v[166:167]
	v_fma_f64 v[168:169], v[0:1], s[0:1], v[168:169]
	v_add_f64 v[192:193], v[192:193], v[196:197]
	v_add_f64 v[194:195], v[194:195], v[202:203]
	v_fma_f64 v[196:197], v[214:215], s[40:41], v[198:199]
	v_fma_f64 v[202:203], v[0:1], s[36:37], v[218:219]
	v_mul_f64 v[2:3], v[2:3], s[14:15]
	v_add_f64 v[208:209], v[220:221], v[208:209]
	v_add_f64 v[166:167], v[166:167], v[174:175]
	;; [unrolled: 1-line block ×3, first 2 shown]
	v_mul_f64 v[174:175], v[212:213], s[18:19]
	v_add_f64 v[212:213], v[156:157], v[160:161]
	v_add_f64 v[176:177], v[196:197], v[182:183]
	;; [unrolled: 1-line block ×3, first 2 shown]
	v_add_f64 v[190:191], v[158:159], -v[162:163]
	v_add_f64 v[158:159], v[158:159], v[162:163]
	v_fma_f64 v[162:163], v[214:215], s[40:41], -v[198:199]
	v_fma_f64 v[196:197], v[0:1], s[42:43], v[218:219]
	v_fma_f64 v[198:199], v[214:215], s[14:15], v[174:175]
	;; [unrolled: 1-line block ×3, first 2 shown]
	v_add_f64 v[156:157], v[156:157], -v[160:161]
	v_fma_f64 v[174:175], v[214:215], s[14:15], -v[174:175]
	v_mul_f64 v[160:161], v[190:191], s[30:31]
	v_mul_f64 v[218:219], v[158:159], s[34:35]
	v_fma_f64 v[0:1], v[0:1], s[18:19], v[2:3]
	v_add_f64 v[2:3], v[162:163], v[170:171]
	v_add_f64 v[162:163], v[196:197], v[178:179]
	;; [unrolled: 1-line block ×5, first 2 shown]
	v_fma_f64 v[196:197], v[212:213], s[34:35], v[160:161]
	v_fma_f64 v[198:199], v[156:157], s[38:39], v[218:219]
	v_add_f64 v[0:1], v[0:1], v[90:91]
	v_mul_f64 v[90:91], v[190:191], s[10:11]
	v_mul_f64 v[174:175], v[158:159], s[2:3]
	v_fma_f64 v[160:161], v[212:213], s[34:35], -v[160:161]
	v_fma_f64 v[200:201], v[156:157], s[30:31], v[218:219]
	v_add_f64 v[214:215], v[148:149], -v[150:151]
	v_add_f64 v[184:185], v[196:197], v[184:185]
	v_add_f64 v[186:187], v[198:199], v[186:187]
	v_mul_f64 v[196:197], v[190:191], s[8:9]
	v_mul_f64 v[198:199], v[158:159], s[14:15]
	v_fma_f64 v[202:203], v[212:213], s[2:3], v[90:91]
	v_fma_f64 v[210:211], v[156:157], s[0:1], v[174:175]
	v_add_f64 v[160:161], v[160:161], v[164:165]
	v_add_f64 v[164:165], v[200:201], v[172:173]
	v_fma_f64 v[90:91], v[212:213], s[2:3], -v[90:91]
	v_fma_f64 v[172:173], v[156:157], s[10:11], v[174:175]
	v_fma_f64 v[174:175], v[212:213], s[14:15], v[196:197]
	;; [unrolled: 1-line block ×3, first 2 shown]
	v_add_f64 v[202:203], v[202:203], v[204:205]
	v_add_f64 v[204:205], v[210:211], v[206:207]
	v_mul_f64 v[206:207], v[190:191], s[42:43]
	v_mul_f64 v[210:211], v[158:159], s[40:41]
	v_add_f64 v[90:91], v[90:91], v[92:93]
	v_add_f64 v[172:173], v[172:173], v[94:95]
	;; [unrolled: 1-line block ×4, first 2 shown]
	v_fma_f64 v[92:93], v[212:213], s[14:15], -v[196:197]
	v_fma_f64 v[94:95], v[156:157], s[8:9], v[198:199]
	v_fma_f64 v[188:189], v[212:213], s[40:41], v[206:207]
	v_mul_f64 v[198:199], v[190:191], s[20:21]
	v_mul_f64 v[200:201], v[158:159], s[16:17]
	v_fma_f64 v[206:207], v[212:213], s[40:41], -v[206:207]
	v_fma_f64 v[196:197], v[156:157], s[36:37], v[210:211]
	v_fma_f64 v[210:211], v[156:157], s[42:43], v[210:211]
	v_add_f64 v[192:193], v[92:93], v[192:193]
	v_add_f64 v[194:195], v[94:95], v[194:195]
	;; [unrolled: 1-line block ×3, first 2 shown]
	v_fma_f64 v[92:93], v[212:213], s[16:17], v[198:199]
	v_fma_f64 v[94:95], v[156:157], s[24:25], v[200:201]
	v_add_f64 v[166:167], v[206:207], v[166:167]
	v_fma_f64 v[198:199], v[212:213], s[16:17], -v[198:199]
	v_mul_f64 v[190:191], v[190:191], s[22:23]
	v_mul_f64 v[158:159], v[158:159], s[26:27]
	v_add_f64 v[206:207], v[152:153], -v[154:155]
	v_add_f64 v[208:209], v[152:153], v[154:155]
	v_add_f64 v[168:169], v[210:211], v[168:169]
	;; [unrolled: 1-line block ×5, first 2 shown]
	v_fma_f64 v[2:3], v[212:213], s[26:27], v[190:191]
	v_fma_f64 v[92:93], v[156:157], s[28:29], v[158:159]
	v_add_f64 v[210:211], v[148:149], v[150:151]
	v_mul_f64 v[94:95], v[206:207], s[36:37]
	v_mul_f64 v[148:149], v[208:209], s[40:41]
	v_fma_f64 v[150:151], v[212:213], s[26:27], -v[190:191]
	v_add_f64 v[216:217], v[222:223], v[216:217]
	v_fma_f64 v[200:201], v[156:157], s[20:21], v[200:201]
	v_fma_f64 v[152:153], v[156:157], s[22:23], v[158:159]
	v_add_f64 v[190:191], v[2:3], v[170:171]
	v_add_f64 v[178:179], v[92:93], v[178:179]
	v_mul_f64 v[154:155], v[206:207], s[20:21]
	v_mul_f64 v[156:157], v[208:209], s[16:17]
	v_fma_f64 v[2:3], v[210:211], s[40:41], v[94:95]
	v_fma_f64 v[92:93], v[214:215], s[42:43], v[148:149]
	v_add_f64 v[212:213], v[150:151], v[88:89]
	v_fma_f64 v[88:89], v[210:211], s[40:41], -v[94:95]
	v_fma_f64 v[94:95], v[214:215], s[36:37], v[148:149]
	v_add_f64 v[196:197], v[196:197], v[216:217]
	v_add_f64 v[216:217], v[152:153], v[0:1]
	v_fma_f64 v[148:149], v[210:211], s[16:17], v[154:155]
	v_add_f64 v[0:1], v[2:3], v[184:185]
	v_add_f64 v[2:3], v[92:93], v[186:187]
	v_mul_f64 v[152:153], v[206:207], s[30:31]
	v_mul_f64 v[158:159], v[208:209], s[34:35]
	v_add_f64 v[92:93], v[88:89], v[160:161]
	v_add_f64 v[94:95], v[94:95], v[164:165]
	v_fma_f64 v[88:89], v[210:211], s[16:17], -v[154:155]
	v_fma_f64 v[154:155], v[214:215], s[20:21], v[156:157]
	v_mul_f64 v[164:165], v[208:209], s[14:15]
	v_add_f64 v[200:201], v[200:201], v[162:163]
	v_fma_f64 v[150:151], v[214:215], s[24:25], v[156:157]
	v_fma_f64 v[156:157], v[210:211], s[34:35], v[152:153]
	;; [unrolled: 1-line block ×3, first 2 shown]
	v_mul_f64 v[162:163], v[206:207], s[18:19]
	v_fma_f64 v[170:171], v[210:211], s[34:35], -v[152:153]
	v_add_f64 v[88:89], v[88:89], v[90:91]
	v_add_f64 v[90:91], v[154:155], v[172:173]
	v_fma_f64 v[172:173], v[214:215], s[8:9], v[164:165]
	v_mul_f64 v[184:185], v[208:209], s[26:27]
	v_add_f64 v[152:153], v[156:157], v[174:175]
	v_add_f64 v[154:155], v[160:161], v[180:181]
	v_fma_f64 v[160:161], v[210:211], s[14:15], v[162:163]
	v_add_f64 v[156:157], v[170:171], v[192:193]
	v_fma_f64 v[170:171], v[210:211], s[14:15], -v[162:163]
	v_fma_f64 v[174:175], v[214:215], s[18:19], v[164:165]
	v_mul_f64 v[180:181], v[206:207], s[22:23]
	v_add_f64 v[162:163], v[172:173], v[196:197]
	v_mul_f64 v[172:173], v[206:207], s[10:11]
	v_mul_f64 v[186:187], v[208:209], s[2:3]
	v_fma_f64 v[158:159], v[214:215], s[30:31], v[158:159]
	v_add_f64 v[160:161], v[160:161], v[188:189]
	v_add_f64 v[164:165], v[170:171], v[166:167]
	;; [unrolled: 1-line block ×3, first 2 shown]
	v_fma_f64 v[168:169], v[210:211], s[26:27], v[180:181]
	v_fma_f64 v[170:171], v[214:215], s[28:29], v[184:185]
	v_fma_f64 v[174:175], v[210:211], s[26:27], -v[180:181]
	v_fma_f64 v[180:181], v[214:215], s[22:23], v[184:185]
	v_fma_f64 v[184:185], v[210:211], s[2:3], v[172:173]
	;; [unrolled: 1-line block ×3, first 2 shown]
	v_fma_f64 v[192:193], v[210:211], s[2:3], -v[172:173]
	v_fma_f64 v[186:187], v[214:215], s[10:11], v[186:187]
	v_add_f64 v[148:149], v[148:149], v[202:203]
	v_add_f64 v[150:151], v[150:151], v[204:205]
	;; [unrolled: 1-line block ×11, first 2 shown]
	ds_write_b128 v230, v[84:87]
	ds_write_b128 v230, v[108:111] offset:416
	ds_write_b128 v230, v[116:119] offset:832
	;; [unrolled: 1-line block ×12, first 2 shown]
	ds_write_b128 v232, v[136:139]
	ds_write_b128 v232, v[0:3] offset:416
	ds_write_b128 v232, v[148:151] offset:832
	;; [unrolled: 1-line block ×12, first 2 shown]
	s_waitcnt lgkmcnt(0)
	; wave barrier
	s_waitcnt lgkmcnt(0)
	ds_read_b128 v[112:115], v228
	ds_read_b128 v[108:111], v228 offset:832
	ds_read_b128 v[184:187], v228 offset:5408
	;; [unrolled: 1-line block ×23, first 2 shown]
	s_and_saveexec_b64 s[0:1], vcc
	s_cbranch_execz .LBB0_9
; %bb.8:
	ds_read_b128 v[88:91], v228 offset:4992
	ds_read_b128 v[92:95], v228 offset:10400
	ds_read_b128 v[76:79], v228 offset:15808
	ds_read_b128 v[80:83], v228 offset:21216
.LBB0_9:
	s_or_b64 exec, exec, s[0:1]
	s_waitcnt lgkmcnt(14)
	v_mul_f64 v[0:1], v[10:11], v[186:187]
	v_mul_f64 v[2:3], v[10:11], v[184:185]
	;; [unrolled: 1-line block ×3, first 2 shown]
	v_fma_f64 v[0:1], v[8:9], v[184:185], v[0:1]
	v_fma_f64 v[2:3], v[8:9], v[186:187], -v[2:3]
	v_mul_f64 v[8:9], v[14:15], v[182:183]
	v_fma_f64 v[10:11], v[12:13], v[182:183], -v[10:11]
	v_fma_f64 v[8:9], v[12:13], v[180:181], v[8:9]
	v_mul_f64 v[12:13], v[6:7], v[178:179]
	v_mul_f64 v[6:7], v[6:7], v[176:177]
	v_add_f64 v[14:15], v[112:113], -v[8:9]
	v_fma_f64 v[12:13], v[4:5], v[176:177], v[12:13]
	v_fma_f64 v[4:5], v[4:5], v[178:179], -v[6:7]
	v_mul_f64 v[6:7], v[26:27], v[174:175]
	v_fma_f64 v[176:177], v[24:25], v[172:173], v[6:7]
	v_mul_f64 v[6:7], v[26:27], v[172:173]
	v_fma_f64 v[24:25], v[24:25], v[174:175], -v[6:7]
	v_mul_f64 v[6:7], v[22:23], v[170:171]
	v_fma_f64 v[26:27], v[20:21], v[168:169], v[6:7]
	v_mul_f64 v[6:7], v[22:23], v[168:169]
	;; [unrolled: 4-line block ×3, first 2 shown]
	v_add_f64 v[18:19], v[114:115], -v[10:11]
	v_add_f64 v[10:11], v[0:1], -v[12:13]
	;; [unrolled: 1-line block ×3, first 2 shown]
	v_fma_f64 v[16:17], v[16:17], v[166:167], -v[6:7]
	s_waitcnt lgkmcnt(13)
	v_mul_f64 v[6:7], v[38:39], v[162:163]
	v_fma_f64 v[8:9], v[114:115], 2.0, -v[18:19]
	v_fma_f64 v[0:1], v[0:1], 2.0, -v[10:11]
	;; [unrolled: 1-line block ×3, first 2 shown]
	v_add_f64 v[10:11], v[18:19], -v[10:11]
	v_fma_f64 v[164:165], v[36:37], v[160:161], v[6:7]
	v_mul_f64 v[6:7], v[38:39], v[160:161]
	v_add_f64 v[2:3], v[8:9], -v[2:3]
	v_fma_f64 v[36:37], v[36:37], v[162:163], -v[6:7]
	s_waitcnt lgkmcnt(11)
	v_mul_f64 v[6:7], v[34:35], v[158:159]
	v_fma_f64 v[38:39], v[32:33], v[156:157], v[6:7]
	v_mul_f64 v[6:7], v[34:35], v[156:157]
	v_fma_f64 v[32:33], v[32:33], v[158:159], -v[6:7]
	s_waitcnt lgkmcnt(9)
	v_mul_f64 v[6:7], v[30:31], v[154:155]
	v_fma_f64 v[34:35], v[28:29], v[152:153], v[6:7]
	v_mul_f64 v[6:7], v[30:31], v[152:153]
	v_add_f64 v[30:31], v[110:111], -v[20:21]
	v_fma_f64 v[152:153], v[28:29], v[154:155], -v[6:7]
	v_mul_f64 v[6:7], v[50:51], v[150:151]
	v_add_f64 v[28:29], v[108:109], -v[26:27]
	v_fma_f64 v[26:27], v[110:111], 2.0, -v[30:31]
	v_fma_f64 v[154:155], v[48:49], v[148:149], v[6:7]
	v_mul_f64 v[6:7], v[50:51], v[148:149]
	v_fma_f64 v[20:21], v[108:109], 2.0, -v[28:29]
	v_fma_f64 v[48:49], v[48:49], v[150:151], -v[6:7]
	v_mul_f64 v[6:7], v[46:47], v[146:147]
	v_fma_f64 v[50:51], v[44:45], v[144:145], v[6:7]
	v_mul_f64 v[6:7], v[46:47], v[144:145]
	v_add_f64 v[46:47], v[106:107], -v[32:33]
	v_fma_f64 v[144:145], v[44:45], v[146:147], -v[6:7]
	s_waitcnt lgkmcnt(8)
	v_mul_f64 v[6:7], v[42:43], v[142:143]
	v_add_f64 v[44:45], v[104:105], -v[38:39]
	v_fma_f64 v[146:147], v[40:41], v[140:141], v[6:7]
	v_mul_f64 v[6:7], v[42:43], v[140:141]
	v_add_f64 v[42:43], v[24:25], -v[16:17]
	v_fma_f64 v[38:39], v[104:105], 2.0, -v[44:45]
	v_fma_f64 v[140:141], v[40:41], v[142:143], -v[6:7]
	s_waitcnt lgkmcnt(5)
	v_mul_f64 v[6:7], v[62:63], v[138:139]
	v_add_f64 v[40:41], v[176:177], -v[22:23]
	v_fma_f64 v[142:143], v[60:61], v[136:137], v[6:7]
	v_mul_f64 v[6:7], v[62:63], v[136:137]
	v_fma_f64 v[16:17], v[176:177], 2.0, -v[40:41]
	v_add_f64 v[62:63], v[102:103], -v[144:145]
	v_fma_f64 v[136:137], v[60:61], v[138:139], -v[6:7]
	s_waitcnt lgkmcnt(3)
	v_mul_f64 v[6:7], v[58:59], v[134:135]
	v_add_f64 v[60:61], v[100:101], -v[50:51]
	v_add_f64 v[16:17], v[20:21], -v[16:17]
	v_fma_f64 v[138:139], v[56:57], v[132:133], v[6:7]
	v_mul_f64 v[6:7], v[58:59], v[132:133]
	v_add_f64 v[58:59], v[154:155], -v[146:147]
	v_fma_f64 v[20:21], v[20:21], 2.0, -v[16:17]
	v_fma_f64 v[132:133], v[56:57], v[134:135], -v[6:7]
	s_waitcnt lgkmcnt(1)
	v_mul_f64 v[6:7], v[54:55], v[130:131]
	v_add_f64 v[56:57], v[48:49], -v[140:141]
	v_fma_f64 v[50:51], v[154:155], 2.0, -v[58:59]
	v_add_f64 v[58:59], v[62:63], -v[58:59]
	v_fma_f64 v[134:135], v[52:53], v[128:129], v[6:7]
	v_mul_f64 v[6:7], v[54:55], v[128:129]
	v_fma_f64 v[54:55], v[102:103], 2.0, -v[62:63]
	v_add_f64 v[102:103], v[98:99], -v[132:133]
	v_fma_f64 v[62:63], v[62:63], 2.0, -v[58:59]
	v_fma_f64 v[128:129], v[52:53], v[130:131], -v[6:7]
	v_mul_f64 v[6:7], v[74:75], v[126:127]
	v_add_f64 v[52:53], v[36:37], -v[152:153]
	v_fma_f64 v[130:131], v[72:73], v[124:125], v[6:7]
	v_mul_f64 v[6:7], v[74:75], v[124:125]
	v_add_f64 v[74:75], v[142:143], -v[134:135]
	v_fma_f64 v[124:125], v[72:73], v[126:127], -v[6:7]
	v_mul_f64 v[6:7], v[70:71], v[122:123]
	v_add_f64 v[72:73], v[136:137], -v[128:129]
	v_fma_f64 v[126:127], v[68:69], v[120:121], v[6:7]
	v_mul_f64 v[6:7], v[70:71], v[120:121]
	v_fma_f64 v[70:71], v[98:99], 2.0, -v[102:103]
	v_add_f64 v[108:109], v[84:85], -v[126:127]
	v_fma_f64 v[120:121], v[68:69], v[122:123], -v[6:7]
	s_waitcnt lgkmcnt(0)
	v_mul_f64 v[6:7], v[66:67], v[118:119]
	v_add_f64 v[110:111], v[86:87], -v[120:121]
	v_fma_f64 v[122:123], v[64:65], v[116:117], v[6:7]
	v_mul_f64 v[6:7], v[66:67], v[116:117]
	v_fma_f64 v[66:67], v[136:137], 2.0, -v[72:73]
	v_fma_f64 v[116:117], v[64:65], v[118:119], -v[6:7]
	v_fma_f64 v[6:7], v[112:113], 2.0, -v[14:15]
	v_fma_f64 v[64:65], v[48:49], 2.0, -v[56:57]
	v_add_f64 v[56:57], v[60:61], v[56:57]
	v_add_f64 v[66:67], v[70:71], -v[66:67]
	v_add_f64 v[104:105], v[124:125], -v[116:117]
	;; [unrolled: 1-line block ×3, first 2 shown]
	v_fma_f64 v[70:71], v[70:71], 2.0, -v[66:67]
	v_fma_f64 v[4:5], v[6:7], 2.0, -v[0:1]
	;; [unrolled: 1-line block ×3, first 2 shown]
	v_add_f64 v[8:9], v[14:15], v[12:13]
	v_fma_f64 v[12:13], v[14:15], 2.0, -v[8:9]
	v_fma_f64 v[14:15], v[18:19], 2.0, -v[10:11]
	;; [unrolled: 1-line block ×3, first 2 shown]
	v_add_f64 v[24:25], v[28:29], v[42:43]
	v_add_f64 v[42:43], v[164:165], -v[34:35]
	v_fma_f64 v[34:35], v[36:37], 2.0, -v[52:53]
	v_add_f64 v[18:19], v[26:27], -v[18:19]
	v_fma_f64 v[28:29], v[28:29], 2.0, -v[24:25]
	v_fma_f64 v[32:33], v[164:165], 2.0, -v[42:43]
	v_add_f64 v[42:43], v[46:47], -v[42:43]
	v_fma_f64 v[22:23], v[26:27], 2.0, -v[18:19]
	v_add_f64 v[26:27], v[30:31], -v[40:41]
	v_fma_f64 v[40:41], v[106:107], 2.0, -v[46:47]
	v_add_f64 v[32:33], v[38:39], -v[32:33]
	v_add_f64 v[106:107], v[130:131], -v[122:123]
	v_fma_f64 v[46:47], v[46:47], 2.0, -v[42:43]
	v_fma_f64 v[30:31], v[30:31], 2.0, -v[26:27]
	v_add_f64 v[34:35], v[40:41], -v[34:35]
	v_fma_f64 v[36:37], v[38:39], 2.0, -v[32:33]
	v_fma_f64 v[38:39], v[40:41], 2.0, -v[34:35]
	v_add_f64 v[40:41], v[44:45], v[52:53]
	v_fma_f64 v[52:53], v[100:101], 2.0, -v[60:61]
	v_add_f64 v[100:101], v[96:97], -v[138:139]
	v_fma_f64 v[60:61], v[60:61], 2.0, -v[56:57]
	v_fma_f64 v[44:45], v[44:45], 2.0, -v[40:41]
	v_add_f64 v[48:49], v[52:53], -v[50:51]
	v_add_f64 v[50:51], v[54:55], -v[64:65]
	v_fma_f64 v[64:65], v[142:143], 2.0, -v[74:75]
	v_add_f64 v[72:73], v[100:101], v[72:73]
	v_add_f64 v[74:75], v[102:103], -v[74:75]
	v_fma_f64 v[68:69], v[96:97], 2.0, -v[100:101]
	v_fma_f64 v[52:53], v[52:53], 2.0, -v[48:49]
	v_fma_f64 v[54:55], v[54:55], 2.0, -v[50:51]
	v_fma_f64 v[96:97], v[100:101], 2.0, -v[72:73]
	v_fma_f64 v[98:99], v[102:103], 2.0, -v[74:75]
	v_fma_f64 v[100:101], v[84:85], 2.0, -v[108:109]
	v_fma_f64 v[102:103], v[86:87], 2.0, -v[110:111]
	v_fma_f64 v[84:85], v[130:131], 2.0, -v[106:107]
	v_fma_f64 v[86:87], v[124:125], 2.0, -v[104:105]
	v_add_f64 v[64:65], v[68:69], -v[64:65]
	v_add_f64 v[104:105], v[108:109], v[104:105]
	v_add_f64 v[106:107], v[110:111], -v[106:107]
	v_add_f64 v[84:85], v[100:101], -v[84:85]
	;; [unrolled: 1-line block ×3, first 2 shown]
	v_fma_f64 v[68:69], v[68:69], 2.0, -v[64:65]
	v_fma_f64 v[108:109], v[108:109], 2.0, -v[104:105]
	;; [unrolled: 1-line block ×5, first 2 shown]
	ds_write_b128 v228, v[4:7]
	ds_write_b128 v228, v[12:15] offset:5408
	ds_write_b128 v228, v[0:3] offset:10816
	;; [unrolled: 1-line block ×23, first 2 shown]
	s_and_saveexec_b64 s[0:1], vcc
	s_cbranch_execz .LBB0_11
; %bb.10:
	buffer_load_dword v20, off, s[52:55], 0 offset:896 ; 4-byte Folded Reload
	buffer_load_dword v21, off, s[52:55], 0 offset:900 ; 4-byte Folded Reload
	;; [unrolled: 1-line block ×12, first 2 shown]
	s_waitcnt vmcnt(8)
	v_mul_f64 v[0:1], v[22:23], v[76:77]
	s_waitcnt vmcnt(4)
	v_mul_f64 v[2:3], v[18:19], v[94:95]
	v_mul_f64 v[4:5], v[18:19], v[92:93]
	s_waitcnt vmcnt(0)
	v_mul_f64 v[6:7], v[14:15], v[80:81]
	v_mul_f64 v[8:9], v[22:23], v[78:79]
	;; [unrolled: 1-line block ×3, first 2 shown]
	v_fma_f64 v[0:1], v[20:21], v[78:79], -v[0:1]
	v_fma_f64 v[2:3], v[16:17], v[92:93], v[2:3]
	v_fma_f64 v[4:5], v[16:17], v[94:95], -v[4:5]
	v_fma_f64 v[6:7], v[12:13], v[82:83], -v[6:7]
	v_fma_f64 v[8:9], v[20:21], v[76:77], v[8:9]
	v_fma_f64 v[10:11], v[12:13], v[80:81], v[10:11]
	v_add_f64 v[12:13], v[90:91], -v[0:1]
	v_add_f64 v[0:1], v[4:5], -v[6:7]
	;; [unrolled: 1-line block ×4, first 2 shown]
	v_fma_f64 v[14:15], v[90:91], 2.0, -v[12:13]
	v_fma_f64 v[4:5], v[4:5], 2.0, -v[0:1]
	;; [unrolled: 1-line block ×4, first 2 shown]
	v_add_f64 v[2:3], v[12:13], -v[6:7]
	v_add_f64 v[0:1], v[8:9], v[0:1]
	v_add_f64 v[6:7], v[14:15], -v[4:5]
	v_add_f64 v[4:5], v[16:17], -v[10:11]
	v_fma_f64 v[10:11], v[12:13], 2.0, -v[2:3]
	v_fma_f64 v[8:9], v[8:9], 2.0, -v[0:1]
	v_fma_f64 v[14:15], v[14:15], 2.0, -v[6:7]
	v_fma_f64 v[12:13], v[16:17], 2.0, -v[4:5]
	ds_write_b128 v228, v[8:11] offset:10400
	ds_write_b128 v228, v[4:7] offset:15808
	;; [unrolled: 1-line block ×4, first 2 shown]
.LBB0_11:
	s_or_b64 exec, exec, s[0:1]
	s_waitcnt lgkmcnt(0)
	; wave barrier
	s_waitcnt lgkmcnt(0)
	ds_read_b128 v[4:7], v228
	ds_read_b128 v[0:3], v228 offset:832
	buffer_load_dword v18, off, s[52:55], 0 offset:384 ; 4-byte Folded Reload
	buffer_load_dword v19, off, s[52:55], 0 offset:388 ; 4-byte Folded Reload
	;; [unrolled: 1-line block ×7, first 2 shown]
	v_mov_b32_e32 v24, s13
	s_waitcnt vmcnt(3) lgkmcnt(1)
	v_mul_f64 v[8:9], v[20:21], v[6:7]
	s_waitcnt vmcnt(2)
	v_mov_b32_e32 v16, v10
	s_waitcnt vmcnt(1)
	v_mul_f64 v[10:11], v[20:21], v[4:5]
	v_mad_u64_u32 v[14:15], s[0:1], s6, v16, 0
	s_waitcnt vmcnt(0)
	v_mad_u64_u32 v[12:13], s[0:1], s4, v17, 0
	s_mul_i32 s6, s5, 0xffffd900
	v_fma_f64 v[4:5], v[18:19], v[4:5], v[8:9]
	v_mad_u64_u32 v[8:9], s[0:1], s7, v16, v[15:16]
	v_mov_b32_e32 v9, v13
	v_mad_u64_u32 v[16:17], s[2:3], s5, v17, v[9:10]
	v_fma_f64 v[6:7], v[18:19], v[6:7], -v[10:11]
	v_mov_b32_e32 v15, v8
	ds_read_b128 v[8:11], v228 offset:10816
	v_mov_b32_e32 v13, v16
	ds_read_b128 v[16:19], v228 offset:9984
	buffer_load_dword v25, off, s[52:55], 0 ; 4-byte Folded Reload
	buffer_load_dword v26, off, s[52:55], 0 offset:4 ; 4-byte Folded Reload
	buffer_load_dword v27, off, s[52:55], 0 offset:8 ; 4-byte Folded Reload
	;; [unrolled: 1-line block ×3, first 2 shown]
	s_mov_b32 s0, 0x7ab2bedd
	s_mov_b32 s1, 0x3f483c97
	v_mul_f64 v[4:5], v[4:5], s[0:1]
	v_mul_f64 v[6:7], v[6:7], s[0:1]
	v_lshlrev_b64 v[14:15], 4, v[14:15]
	v_lshlrev_b64 v[12:13], 4, v[12:13]
	v_add_co_u32_e32 v30, vcc, s12, v14
	v_addc_co_u32_e32 v31, vcc, v24, v15, vcc
	v_add_co_u32_e32 v12, vcc, v30, v12
	v_addc_co_u32_e32 v13, vcc, v31, v13, vcc
	global_store_dwordx4 v[12:13], v[4:7], off
	s_mul_i32 s2, s5, 0x2a40
	s_mul_hi_u32 s3, s4, 0x2a40
	s_add_i32 s2, s3, s2
	s_mul_i32 s3, s4, 0x2a40
	s_mul_hi_u32 s7, s4, 0xffffd900
	s_sub_i32 s7, s7, s4
	s_add_i32 s7, s7, s6
	s_mul_i32 s6, s4, 0xffffd900
	v_mov_b32_e32 v32, s7
	s_waitcnt vmcnt(1) lgkmcnt(1)
	v_mul_f64 v[20:21], v[27:28], v[10:11]
	v_mul_f64 v[22:23], v[27:28], v[8:9]
	v_fma_f64 v[8:9], v[25:26], v[8:9], v[20:21]
	v_fma_f64 v[10:11], v[25:26], v[10:11], -v[22:23]
	buffer_load_dword v22, off, s[52:55], 0 offset:16 ; 4-byte Folded Reload
	buffer_load_dword v23, off, s[52:55], 0 offset:20 ; 4-byte Folded Reload
	;; [unrolled: 1-line block ×4, first 2 shown]
	v_mov_b32_e32 v21, s2
	v_add_co_u32_e32 v20, vcc, s3, v12
	v_addc_co_u32_e32 v21, vcc, v13, v21, vcc
	v_mul_f64 v[4:5], v[8:9], s[0:1]
	v_mul_f64 v[6:7], v[10:11], s[0:1]
	global_store_dwordx4 v[20:21], v[4:7], off
	v_add_co_u32_e32 v20, vcc, s6, v20
	v_addc_co_u32_e32 v21, vcc, v21, v32, vcc
	v_mov_b32_e32 v32, s2
	s_waitcnt vmcnt(1)
	v_mul_f64 v[8:9], v[24:25], v[2:3]
	v_mul_f64 v[14:15], v[24:25], v[0:1]
	v_fma_f64 v[8:9], v[22:23], v[0:1], v[8:9]
	v_fma_f64 v[10:11], v[22:23], v[2:3], -v[14:15]
	ds_read_b128 v[0:3], v228 offset:11648
	v_mul_f64 v[4:5], v[8:9], s[0:1]
	v_mul_f64 v[6:7], v[10:11], s[0:1]
	ds_read_b128 v[8:11], v228 offset:12480
	buffer_load_dword v26, off, s[52:55], 0 offset:32 ; 4-byte Folded Reload
	buffer_load_dword v27, off, s[52:55], 0 offset:36 ; 4-byte Folded Reload
	;; [unrolled: 1-line block ×4, first 2 shown]
	ds_read_b128 v[12:15], v228 offset:1664
	s_waitcnt vmcnt(0) lgkmcnt(2)
	v_mul_f64 v[22:23], v[28:29], v[2:3]
	v_mul_f64 v[24:25], v[28:29], v[0:1]
	v_fma_f64 v[22:23], v[26:27], v[0:1], v[22:23]
	v_fma_f64 v[24:25], v[26:27], v[2:3], -v[24:25]
	ds_read_b128 v[0:3], v228 offset:2496
	buffer_load_dword v33, off, s[52:55], 0 offset:48 ; 4-byte Folded Reload
	buffer_load_dword v34, off, s[52:55], 0 offset:52 ; 4-byte Folded Reload
	;; [unrolled: 1-line block ×4, first 2 shown]
	s_waitcnt vmcnt(0) lgkmcnt(1)
	v_mul_f64 v[26:27], v[35:36], v[14:15]
	v_mul_f64 v[28:29], v[35:36], v[12:13]
	global_store_dwordx4 v[20:21], v[4:7], off
	v_add_co_u32_e32 v20, vcc, s3, v20
	v_mul_f64 v[4:5], v[22:23], s[0:1]
	v_mul_f64 v[6:7], v[24:25], s[0:1]
	v_addc_co_u32_e32 v21, vcc, v21, v32, vcc
	v_fma_f64 v[12:13], v[33:34], v[12:13], v[26:27]
	v_fma_f64 v[14:15], v[33:34], v[14:15], -v[28:29]
	buffer_load_dword v33, off, s[52:55], 0 offset:64 ; 4-byte Folded Reload
	buffer_load_dword v34, off, s[52:55], 0 offset:68 ; 4-byte Folded Reload
	;; [unrolled: 1-line block ×4, first 2 shown]
	v_mov_b32_e32 v26, s7
	global_store_dwordx4 v[20:21], v[4:7], off
	v_add_co_u32_e32 v20, vcc, s6, v20
	v_mul_f64 v[4:5], v[12:13], s[0:1]
	v_mul_f64 v[6:7], v[14:15], s[0:1]
	v_addc_co_u32_e32 v21, vcc, v21, v26, vcc
	s_waitcnt vmcnt(1)
	v_mul_f64 v[22:23], v[35:36], v[10:11]
	v_mul_f64 v[24:25], v[35:36], v[8:9]
	v_fma_f64 v[8:9], v[33:34], v[8:9], v[22:23]
	v_fma_f64 v[10:11], v[33:34], v[10:11], -v[24:25]
	buffer_load_dword v32, off, s[52:55], 0 offset:80 ; 4-byte Folded Reload
	buffer_load_dword v33, off, s[52:55], 0 offset:84 ; 4-byte Folded Reload
	;; [unrolled: 1-line block ×4, first 2 shown]
	v_mov_b32_e32 v22, s2
	global_store_dwordx4 v[20:21], v[4:7], off
	v_mov_b32_e32 v23, s7
	v_mul_f64 v[4:5], v[8:9], s[0:1]
	v_mul_f64 v[6:7], v[10:11], s[0:1]
	s_waitcnt vmcnt(1) lgkmcnt(0)
	v_mul_f64 v[12:13], v[34:35], v[2:3]
	v_mul_f64 v[14:15], v[34:35], v[0:1]
	v_fma_f64 v[8:9], v[32:33], v[0:1], v[12:13]
	v_fma_f64 v[10:11], v[32:33], v[2:3], -v[14:15]
	v_add_co_u32_e32 v12, vcc, s3, v20
	v_addc_co_u32_e32 v13, vcc, v21, v22, vcc
	global_store_dwordx4 v[12:13], v[4:7], off
	ds_read_b128 v[0:3], v228 offset:13312
	v_mul_f64 v[4:5], v[8:9], s[0:1]
	v_mul_f64 v[6:7], v[10:11], s[0:1]
	ds_read_b128 v[8:11], v228 offset:14144
	buffer_load_dword v26, off, s[52:55], 0 offset:100 ; 4-byte Folded Reload
	buffer_load_dword v27, off, s[52:55], 0 offset:104 ; 4-byte Folded Reload
	;; [unrolled: 1-line block ×4, first 2 shown]
	v_add_co_u32_e32 v22, vcc, s6, v12
	v_addc_co_u32_e32 v23, vcc, v13, v23, vcc
	buffer_load_dword v32, off, s[52:55], 0 offset:96 ; 4-byte Folded Reload
	s_waitcnt vmcnt(1) lgkmcnt(1)
	v_mul_f64 v[14:15], v[28:29], v[2:3]
	v_mul_f64 v[20:21], v[28:29], v[0:1]
	global_store_dwordx4 v[22:23], v[4:7], off
	ds_read_b128 v[4:7], v228 offset:3328
	s_waitcnt vmcnt(1)
	v_mad_u64_u32 v[24:25], s[8:9], s4, v32, 0
	v_fma_f64 v[12:13], v[26:27], v[0:1], v[14:15]
	v_fma_f64 v[14:15], v[26:27], v[2:3], -v[20:21]
	ds_read_b128 v[0:3], v228 offset:4160
	buffer_load_dword v33, off, s[52:55], 0 offset:116 ; 4-byte Folded Reload
	buffer_load_dword v34, off, s[52:55], 0 offset:120 ; 4-byte Folded Reload
	;; [unrolled: 1-line block ×4, first 2 shown]
	v_mov_b32_e32 v20, v25
	v_mad_u64_u32 v[20:21], s[8:9], s5, v32, v[20:21]
	v_mul_f64 v[12:13], v[12:13], s[0:1]
	v_mul_f64 v[14:15], v[14:15], s[0:1]
	v_mov_b32_e32 v25, v20
	v_lshlrev_b64 v[20:21], 4, v[24:25]
	v_add_co_u32_e32 v20, vcc, v30, v20
	v_addc_co_u32_e32 v21, vcc, v31, v21, vcc
	s_waitcnt vmcnt(0) lgkmcnt(1)
	v_mul_f64 v[26:27], v[35:36], v[6:7]
	v_mul_f64 v[28:29], v[35:36], v[4:5]
	v_fma_f64 v[4:5], v[33:34], v[4:5], v[26:27]
	v_fma_f64 v[6:7], v[33:34], v[6:7], -v[28:29]
	buffer_load_dword v32, off, s[52:55], 0 offset:132 ; 4-byte Folded Reload
	buffer_load_dword v33, off, s[52:55], 0 offset:136 ; 4-byte Folded Reload
	;; [unrolled: 1-line block ×4, first 2 shown]
	v_mul_f64 v[4:5], v[4:5], s[0:1]
	global_store_dwordx4 v[20:21], v[12:15], off
	v_mul_f64 v[6:7], v[6:7], s[0:1]
	v_mov_b32_e32 v12, 0x340
	v_mad_u64_u32 v[12:13], s[8:9], s4, v12, v[22:23]
	s_mul_i32 s4, s5, 0x340
	v_add_u32_e32 v13, s4, v13
	s_waitcnt vmcnt(1)
	v_mul_f64 v[24:25], v[34:35], v[10:11]
	v_mul_f64 v[26:27], v[34:35], v[8:9]
	v_fma_f64 v[8:9], v[32:33], v[8:9], v[24:25]
	buffer_load_dword v22, off, s[52:55], 0 offset:148 ; 4-byte Folded Reload
	buffer_load_dword v23, off, s[52:55], 0 offset:152 ; 4-byte Folded Reload
	;; [unrolled: 1-line block ×4, first 2 shown]
	v_fma_f64 v[10:11], v[32:33], v[10:11], -v[26:27]
	global_store_dwordx4 v[12:13], v[4:7], off
	v_mov_b32_e32 v27, s2
	v_add_co_u32_e32 v26, vcc, s3, v12
	v_addc_co_u32_e32 v27, vcc, v13, v27, vcc
	v_mul_f64 v[4:5], v[8:9], s[0:1]
	v_mul_f64 v[6:7], v[10:11], s[0:1]
	ds_read_b128 v[8:11], v228 offset:14976
	s_waitcnt vmcnt(1) lgkmcnt(1)
	v_mul_f64 v[14:15], v[24:25], v[2:3]
	v_mul_f64 v[20:21], v[24:25], v[0:1]
	v_fma_f64 v[14:15], v[22:23], v[0:1], v[14:15]
	v_fma_f64 v[20:21], v[22:23], v[2:3], -v[20:21]
	ds_read_b128 v[0:3], v228 offset:15808
	buffer_load_dword v28, off, s[52:55], 0 offset:164 ; 4-byte Folded Reload
	buffer_load_dword v29, off, s[52:55], 0 offset:168 ; 4-byte Folded Reload
	buffer_load_dword v30, off, s[52:55], 0 offset:172 ; 4-byte Folded Reload
	buffer_load_dword v31, off, s[52:55], 0 offset:176 ; 4-byte Folded Reload
	s_waitcnt vmcnt(0) lgkmcnt(1)
	v_mul_f64 v[22:23], v[30:31], v[10:11]
	v_mul_f64 v[24:25], v[30:31], v[8:9]
	global_store_dwordx4 v[26:27], v[4:7], off
	v_mov_b32_e32 v30, s7
	v_mul_f64 v[4:5], v[14:15], s[0:1]
	v_mul_f64 v[6:7], v[20:21], s[0:1]
	ds_read_b128 v[12:15], v228 offset:4992
	v_add_co_u32_e32 v26, vcc, s6, v26
	v_fma_f64 v[20:21], v[28:29], v[8:9], v[22:23]
	v_fma_f64 v[22:23], v[28:29], v[10:11], -v[24:25]
	ds_read_b128 v[8:11], v228 offset:5824
	buffer_load_dword v31, off, s[52:55], 0 offset:180 ; 4-byte Folded Reload
	buffer_load_dword v32, off, s[52:55], 0 offset:184 ; 4-byte Folded Reload
	buffer_load_dword v33, off, s[52:55], 0 offset:188 ; 4-byte Folded Reload
	buffer_load_dword v34, off, s[52:55], 0 offset:192 ; 4-byte Folded Reload
	v_addc_co_u32_e32 v27, vcc, v27, v30, vcc
	global_store_dwordx4 v[26:27], v[4:7], off
	v_mov_b32_e32 v30, s2
	v_mul_f64 v[4:5], v[20:21], s[0:1]
	v_mul_f64 v[6:7], v[22:23], s[0:1]
	s_waitcnt vmcnt(1) lgkmcnt(1)
	v_mul_f64 v[24:25], v[33:34], v[14:15]
	v_mul_f64 v[28:29], v[33:34], v[12:13]
	v_fma_f64 v[12:13], v[31:32], v[12:13], v[24:25]
	v_fma_f64 v[14:15], v[31:32], v[14:15], -v[28:29]
	buffer_load_dword v31, off, s[52:55], 0 offset:196 ; 4-byte Folded Reload
	buffer_load_dword v32, off, s[52:55], 0 offset:200 ; 4-byte Folded Reload
	;; [unrolled: 1-line block ×4, first 2 shown]
	v_add_co_u32_e32 v24, vcc, s3, v26
	v_addc_co_u32_e32 v25, vcc, v27, v30, vcc
	global_store_dwordx4 v[24:25], v[4:7], off
	buffer_load_dword v27, off, s[52:55], 0 offset:212 ; 4-byte Folded Reload
	buffer_load_dword v28, off, s[52:55], 0 offset:216 ; 4-byte Folded Reload
	;; [unrolled: 1-line block ×4, first 2 shown]
	v_mul_f64 v[4:5], v[12:13], s[0:1]
	v_mul_f64 v[6:7], v[14:15], s[0:1]
	v_mov_b32_e32 v26, s7
	s_waitcnt vmcnt(5)
	v_mul_f64 v[20:21], v[33:34], v[2:3]
	v_mul_f64 v[22:23], v[33:34], v[0:1]
	s_waitcnt vmcnt(0) lgkmcnt(0)
	v_mul_f64 v[12:13], v[29:30], v[10:11]
	v_mul_f64 v[14:15], v[29:30], v[8:9]
	v_fma_f64 v[0:1], v[31:32], v[0:1], v[20:21]
	v_add_co_u32_e32 v20, vcc, s6, v24
	v_addc_co_u32_e32 v21, vcc, v25, v26, vcc
	global_store_dwordx4 v[20:21], v[4:7], off
	ds_read_b128 v[4:7], v228 offset:16640
	v_fma_f64 v[12:13], v[27:28], v[8:9], v[12:13]
	v_fma_f64 v[14:15], v[27:28], v[10:11], -v[14:15]
	ds_read_b128 v[8:11], v228 offset:17472
	buffer_load_dword v27, off, s[52:55], 0 offset:228 ; 4-byte Folded Reload
	buffer_load_dword v28, off, s[52:55], 0 offset:232 ; 4-byte Folded Reload
	;; [unrolled: 1-line block ×4, first 2 shown]
	v_fma_f64 v[2:3], v[31:32], v[2:3], -v[22:23]
	v_mul_f64 v[0:1], v[0:1], s[0:1]
	v_mov_b32_e32 v26, s2
	v_add_co_u32_e32 v20, vcc, s3, v20
	v_addc_co_u32_e32 v21, vcc, v21, v26, vcc
	v_mul_f64 v[2:3], v[2:3], s[0:1]
	global_store_dwordx4 v[20:21], v[0:3], off
	s_nop 0
	v_mul_f64 v[0:1], v[12:13], s[0:1]
	v_mul_f64 v[2:3], v[14:15], s[0:1]
	ds_read_b128 v[12:15], v228 offset:6656
	v_add_co_u32_e32 v20, vcc, s6, v20
	s_waitcnt vmcnt(1) lgkmcnt(2)
	v_mul_f64 v[22:23], v[29:30], v[6:7]
	v_mul_f64 v[24:25], v[29:30], v[4:5]
	v_mov_b32_e32 v30, s7
	v_addc_co_u32_e32 v21, vcc, v21, v30, vcc
	v_mov_b32_e32 v30, s2
	v_fma_f64 v[22:23], v[27:28], v[4:5], v[22:23]
	v_fma_f64 v[24:25], v[27:28], v[6:7], -v[24:25]
	ds_read_b128 v[4:7], v228 offset:7488
	buffer_load_dword v31, off, s[52:55], 0 offset:244 ; 4-byte Folded Reload
	buffer_load_dword v32, off, s[52:55], 0 offset:248 ; 4-byte Folded Reload
	;; [unrolled: 1-line block ×4, first 2 shown]
	s_waitcnt vmcnt(0) lgkmcnt(1)
	v_mul_f64 v[26:27], v[33:34], v[14:15]
	v_mul_f64 v[28:29], v[33:34], v[12:13]
	global_store_dwordx4 v[20:21], v[0:3], off
	v_add_co_u32_e32 v20, vcc, s3, v20
	v_mul_f64 v[0:1], v[22:23], s[0:1]
	v_mul_f64 v[2:3], v[24:25], s[0:1]
	v_addc_co_u32_e32 v21, vcc, v21, v30, vcc
	v_fma_f64 v[12:13], v[31:32], v[12:13], v[26:27]
	v_fma_f64 v[14:15], v[31:32], v[14:15], -v[28:29]
	buffer_load_dword v31, off, s[52:55], 0 offset:260 ; 4-byte Folded Reload
	buffer_load_dword v32, off, s[52:55], 0 offset:264 ; 4-byte Folded Reload
	;; [unrolled: 1-line block ×4, first 2 shown]
	v_mov_b32_e32 v26, s7
	global_store_dwordx4 v[20:21], v[0:3], off
	v_add_co_u32_e32 v20, vcc, s6, v20
	v_mul_f64 v[0:1], v[12:13], s[0:1]
	v_mul_f64 v[2:3], v[14:15], s[0:1]
	v_addc_co_u32_e32 v21, vcc, v21, v26, vcc
	v_mov_b32_e32 v26, s2
	s_waitcnt vmcnt(1)
	v_mul_f64 v[22:23], v[33:34], v[10:11]
	v_mul_f64 v[24:25], v[33:34], v[8:9]
	v_fma_f64 v[8:9], v[31:32], v[8:9], v[22:23]
	v_fma_f64 v[10:11], v[31:32], v[10:11], -v[24:25]
	buffer_load_dword v22, off, s[52:55], 0 offset:292 ; 4-byte Folded Reload
	buffer_load_dword v23, off, s[52:55], 0 offset:296 ; 4-byte Folded Reload
	buffer_load_dword v24, off, s[52:55], 0 offset:300 ; 4-byte Folded Reload
	buffer_load_dword v25, off, s[52:55], 0 offset:304 ; 4-byte Folded Reload
	s_waitcnt vmcnt(0) lgkmcnt(0)
	v_mul_f64 v[12:13], v[24:25], v[6:7]
	v_mul_f64 v[14:15], v[24:25], v[4:5]
	global_store_dwordx4 v[20:21], v[0:3], off
	v_add_co_u32_e32 v20, vcc, s3, v20
	v_mul_f64 v[0:1], v[8:9], s[0:1]
	v_mul_f64 v[2:3], v[10:11], s[0:1]
	ds_read_b128 v[8:11], v228 offset:18304
	v_fma_f64 v[12:13], v[22:23], v[4:5], v[12:13]
	v_fma_f64 v[14:15], v[22:23], v[6:7], -v[14:15]
	ds_read_b128 v[4:7], v228 offset:19136
	buffer_load_dword v27, off, s[52:55], 0 offset:308 ; 4-byte Folded Reload
	buffer_load_dword v28, off, s[52:55], 0 offset:312 ; 4-byte Folded Reload
	;; [unrolled: 1-line block ×4, first 2 shown]
	v_addc_co_u32_e32 v21, vcc, v21, v26, vcc
	global_store_dwordx4 v[20:21], v[0:3], off
	v_add_co_u32_e32 v20, vcc, s6, v20
	v_mul_f64 v[0:1], v[12:13], s[0:1]
	v_mul_f64 v[2:3], v[14:15], s[0:1]
	ds_read_b128 v[12:15], v228 offset:8320
	s_waitcnt vmcnt(1) lgkmcnt(2)
	v_mul_f64 v[22:23], v[29:30], v[10:11]
	v_mul_f64 v[24:25], v[29:30], v[8:9]
	v_mov_b32_e32 v30, s7
	v_addc_co_u32_e32 v21, vcc, v21, v30, vcc
	v_mov_b32_e32 v30, s2
	v_fma_f64 v[22:23], v[27:28], v[8:9], v[22:23]
	v_fma_f64 v[24:25], v[27:28], v[10:11], -v[24:25]
	ds_read_b128 v[8:11], v228 offset:9152
	buffer_load_dword v31, off, s[52:55], 0 offset:324 ; 4-byte Folded Reload
	buffer_load_dword v32, off, s[52:55], 0 offset:328 ; 4-byte Folded Reload
	;; [unrolled: 1-line block ×4, first 2 shown]
	s_waitcnt vmcnt(0) lgkmcnt(1)
	v_mul_f64 v[26:27], v[33:34], v[14:15]
	v_mul_f64 v[28:29], v[33:34], v[12:13]
	global_store_dwordx4 v[20:21], v[0:3], off
	v_add_co_u32_e32 v20, vcc, s3, v20
	v_mul_f64 v[0:1], v[22:23], s[0:1]
	v_mul_f64 v[2:3], v[24:25], s[0:1]
	v_addc_co_u32_e32 v21, vcc, v21, v30, vcc
	v_fma_f64 v[12:13], v[31:32], v[12:13], v[26:27]
	v_fma_f64 v[14:15], v[31:32], v[14:15], -v[28:29]
	buffer_load_dword v31, off, s[52:55], 0 offset:340 ; 4-byte Folded Reload
	buffer_load_dword v32, off, s[52:55], 0 offset:344 ; 4-byte Folded Reload
	;; [unrolled: 1-line block ×4, first 2 shown]
	v_mov_b32_e32 v26, s7
	global_store_dwordx4 v[20:21], v[0:3], off
	v_add_co_u32_e32 v20, vcc, s6, v20
	v_mul_f64 v[0:1], v[12:13], s[0:1]
	v_mul_f64 v[2:3], v[14:15], s[0:1]
	v_addc_co_u32_e32 v21, vcc, v21, v26, vcc
	v_mov_b32_e32 v26, s2
	s_waitcnt vmcnt(1)
	v_mul_f64 v[22:23], v[33:34], v[6:7]
	v_mul_f64 v[24:25], v[33:34], v[4:5]
	v_fma_f64 v[4:5], v[31:32], v[4:5], v[22:23]
	v_fma_f64 v[6:7], v[31:32], v[6:7], -v[24:25]
	buffer_load_dword v22, off, s[52:55], 0 offset:356 ; 4-byte Folded Reload
	buffer_load_dword v23, off, s[52:55], 0 offset:360 ; 4-byte Folded Reload
	;; [unrolled: 1-line block ×4, first 2 shown]
	s_waitcnt vmcnt(0) lgkmcnt(0)
	v_mul_f64 v[12:13], v[24:25], v[10:11]
	v_mul_f64 v[14:15], v[24:25], v[8:9]
	global_store_dwordx4 v[20:21], v[0:3], off
	v_add_co_u32_e32 v20, vcc, s3, v20
	v_mul_f64 v[0:1], v[4:5], s[0:1]
	v_mul_f64 v[2:3], v[6:7], s[0:1]
	ds_read_b128 v[4:7], v228 offset:19968
	v_fma_f64 v[12:13], v[22:23], v[8:9], v[12:13]
	v_fma_f64 v[14:15], v[22:23], v[10:11], -v[14:15]
	ds_read_b128 v[8:11], v228 offset:20800
	buffer_load_dword v27, off, s[52:55], 0 offset:276 ; 4-byte Folded Reload
	buffer_load_dword v28, off, s[52:55], 0 offset:280 ; 4-byte Folded Reload
	;; [unrolled: 1-line block ×4, first 2 shown]
	v_addc_co_u32_e32 v21, vcc, v21, v26, vcc
	global_store_dwordx4 v[20:21], v[0:3], off
	s_waitcnt vmcnt(1) lgkmcnt(1)
	v_mul_f64 v[22:23], v[29:30], v[6:7]
	v_mul_f64 v[24:25], v[29:30], v[4:5]
	v_mul_f64 v[0:1], v[12:13], s[0:1]
	v_mov_b32_e32 v13, s7
	v_add_co_u32_e32 v12, vcc, s6, v20
	v_mul_f64 v[2:3], v[14:15], s[0:1]
	v_addc_co_u32_e32 v13, vcc, v21, v13, vcc
	v_fma_f64 v[4:5], v[27:28], v[4:5], v[22:23]
	v_fma_f64 v[6:7], v[27:28], v[6:7], -v[24:25]
	buffer_load_dword v27, off, s[52:55], 0 offset:400 ; 4-byte Folded Reload
	buffer_load_dword v28, off, s[52:55], 0 offset:404 ; 4-byte Folded Reload
	;; [unrolled: 1-line block ×4, first 2 shown]
	s_waitcnt vmcnt(0)
	v_mul_f64 v[14:15], v[29:30], v[18:19]
	v_mul_f64 v[20:21], v[29:30], v[16:17]
	buffer_load_dword v29, off, s[52:55], 0 offset:416 ; 4-byte Folded Reload
	buffer_load_dword v30, off, s[52:55], 0 offset:420 ; 4-byte Folded Reload
	;; [unrolled: 1-line block ×4, first 2 shown]
	s_waitcnt vmcnt(0) lgkmcnt(0)
	v_mul_f64 v[22:23], v[31:32], v[10:11]
	v_mul_f64 v[24:25], v[31:32], v[8:9]
	global_store_dwordx4 v[12:13], v[0:3], off
	v_add_co_u32_e32 v12, vcc, s3, v12
	v_mul_f64 v[0:1], v[4:5], s[0:1]
	v_mul_f64 v[2:3], v[6:7], s[0:1]
	v_fma_f64 v[4:5], v[27:28], v[16:17], v[14:15]
	v_fma_f64 v[6:7], v[27:28], v[18:19], -v[20:21]
	v_fma_f64 v[8:9], v[29:30], v[8:9], v[22:23]
	v_fma_f64 v[10:11], v[29:30], v[10:11], -v[24:25]
	v_addc_co_u32_e32 v13, vcc, v13, v26, vcc
	v_mov_b32_e32 v14, s7
	global_store_dwordx4 v[12:13], v[0:3], off
	s_nop 0
	v_mul_f64 v[0:1], v[4:5], s[0:1]
	v_mul_f64 v[2:3], v[6:7], s[0:1]
	;; [unrolled: 1-line block ×4, first 2 shown]
	v_add_co_u32_e32 v8, vcc, s6, v12
	v_addc_co_u32_e32 v9, vcc, v13, v14, vcc
	global_store_dwordx4 v[8:9], v[0:3], off
	s_nop 0
	v_mov_b32_e32 v1, s2
	v_add_co_u32_e32 v0, vcc, s3, v8
	v_addc_co_u32_e32 v1, vcc, v9, v1, vcc
	global_store_dwordx4 v[0:1], v[4:7], off
.LBB0_12:
	s_endpgm
	.section	.rodata,"a",@progbits
	.p2align	6, 0x0
	.amdhsa_kernel bluestein_single_fwd_len1352_dim1_dp_op_CI_CI
		.amdhsa_group_segment_fixed_size 21632
		.amdhsa_private_segment_fixed_size 916
		.amdhsa_kernarg_size 104
		.amdhsa_user_sgpr_count 6
		.amdhsa_user_sgpr_private_segment_buffer 1
		.amdhsa_user_sgpr_dispatch_ptr 0
		.amdhsa_user_sgpr_queue_ptr 0
		.amdhsa_user_sgpr_kernarg_segment_ptr 1
		.amdhsa_user_sgpr_dispatch_id 0
		.amdhsa_user_sgpr_flat_scratch_init 0
		.amdhsa_user_sgpr_private_segment_size 0
		.amdhsa_uses_dynamic_stack 0
		.amdhsa_system_sgpr_private_segment_wavefront_offset 1
		.amdhsa_system_sgpr_workgroup_id_x 1
		.amdhsa_system_sgpr_workgroup_id_y 0
		.amdhsa_system_sgpr_workgroup_id_z 0
		.amdhsa_system_sgpr_workgroup_info 0
		.amdhsa_system_vgpr_workitem_id 0
		.amdhsa_next_free_vgpr 256
		.amdhsa_next_free_sgpr 56
		.amdhsa_reserve_vcc 1
		.amdhsa_reserve_flat_scratch 0
		.amdhsa_float_round_mode_32 0
		.amdhsa_float_round_mode_16_64 0
		.amdhsa_float_denorm_mode_32 3
		.amdhsa_float_denorm_mode_16_64 3
		.amdhsa_dx10_clamp 1
		.amdhsa_ieee_mode 1
		.amdhsa_fp16_overflow 0
		.amdhsa_exception_fp_ieee_invalid_op 0
		.amdhsa_exception_fp_denorm_src 0
		.amdhsa_exception_fp_ieee_div_zero 0
		.amdhsa_exception_fp_ieee_overflow 0
		.amdhsa_exception_fp_ieee_underflow 0
		.amdhsa_exception_fp_ieee_inexact 0
		.amdhsa_exception_int_div_zero 0
	.end_amdhsa_kernel
	.text
.Lfunc_end0:
	.size	bluestein_single_fwd_len1352_dim1_dp_op_CI_CI, .Lfunc_end0-bluestein_single_fwd_len1352_dim1_dp_op_CI_CI
                                        ; -- End function
	.section	.AMDGPU.csdata,"",@progbits
; Kernel info:
; codeLenInByte = 48840
; NumSgprs: 60
; NumVgprs: 256
; ScratchSize: 916
; MemoryBound: 0
; FloatMode: 240
; IeeeMode: 1
; LDSByteSize: 21632 bytes/workgroup (compile time only)
; SGPRBlocks: 7
; VGPRBlocks: 63
; NumSGPRsForWavesPerEU: 60
; NumVGPRsForWavesPerEU: 256
; Occupancy: 1
; WaveLimiterHint : 1
; COMPUTE_PGM_RSRC2:SCRATCH_EN: 1
; COMPUTE_PGM_RSRC2:USER_SGPR: 6
; COMPUTE_PGM_RSRC2:TRAP_HANDLER: 0
; COMPUTE_PGM_RSRC2:TGID_X_EN: 1
; COMPUTE_PGM_RSRC2:TGID_Y_EN: 0
; COMPUTE_PGM_RSRC2:TGID_Z_EN: 0
; COMPUTE_PGM_RSRC2:TIDIG_COMP_CNT: 0
	.type	__hip_cuid_55a7bf045cd535bf,@object ; @__hip_cuid_55a7bf045cd535bf
	.section	.bss,"aw",@nobits
	.globl	__hip_cuid_55a7bf045cd535bf
__hip_cuid_55a7bf045cd535bf:
	.byte	0                               ; 0x0
	.size	__hip_cuid_55a7bf045cd535bf, 1

	.ident	"AMD clang version 19.0.0git (https://github.com/RadeonOpenCompute/llvm-project roc-6.4.0 25133 c7fe45cf4b819c5991fe208aaa96edf142730f1d)"
	.section	".note.GNU-stack","",@progbits
	.addrsig
	.addrsig_sym __hip_cuid_55a7bf045cd535bf
	.amdgpu_metadata
---
amdhsa.kernels:
  - .args:
      - .actual_access:  read_only
        .address_space:  global
        .offset:         0
        .size:           8
        .value_kind:     global_buffer
      - .actual_access:  read_only
        .address_space:  global
        .offset:         8
        .size:           8
        .value_kind:     global_buffer
      - .actual_access:  read_only
        .address_space:  global
        .offset:         16
        .size:           8
        .value_kind:     global_buffer
      - .actual_access:  read_only
        .address_space:  global
        .offset:         24
        .size:           8
        .value_kind:     global_buffer
      - .actual_access:  read_only
        .address_space:  global
        .offset:         32
        .size:           8
        .value_kind:     global_buffer
      - .offset:         40
        .size:           8
        .value_kind:     by_value
      - .address_space:  global
        .offset:         48
        .size:           8
        .value_kind:     global_buffer
      - .address_space:  global
        .offset:         56
        .size:           8
        .value_kind:     global_buffer
      - .address_space:  global
        .offset:         64
        .size:           8
        .value_kind:     global_buffer
      - .address_space:  global
        .offset:         72
        .size:           8
        .value_kind:     global_buffer
      - .offset:         80
        .size:           4
        .value_kind:     by_value
      - .address_space:  global
        .offset:         88
        .size:           8
        .value_kind:     global_buffer
      - .address_space:  global
        .offset:         96
        .size:           8
        .value_kind:     global_buffer
    .group_segment_fixed_size: 21632
    .kernarg_segment_align: 8
    .kernarg_segment_size: 104
    .language:       OpenCL C
    .language_version:
      - 2
      - 0
    .max_flat_workgroup_size: 52
    .name:           bluestein_single_fwd_len1352_dim1_dp_op_CI_CI
    .private_segment_fixed_size: 916
    .sgpr_count:     60
    .sgpr_spill_count: 0
    .symbol:         bluestein_single_fwd_len1352_dim1_dp_op_CI_CI.kd
    .uniform_work_group_size: 1
    .uses_dynamic_stack: false
    .vgpr_count:     256
    .vgpr_spill_count: 228
    .wavefront_size: 64
amdhsa.target:   amdgcn-amd-amdhsa--gfx906
amdhsa.version:
  - 1
  - 2
...

	.end_amdgpu_metadata
